;; amdgpu-corpus repo=ROCm/rocFFT kind=compiled arch=gfx1201 opt=O3
	.text
	.amdgcn_target "amdgcn-amd-amdhsa--gfx1201"
	.amdhsa_code_object_version 6
	.protected	bluestein_single_fwd_len637_dim1_half_op_CI_CI ; -- Begin function bluestein_single_fwd_len637_dim1_half_op_CI_CI
	.globl	bluestein_single_fwd_len637_dim1_half_op_CI_CI
	.p2align	8
	.type	bluestein_single_fwd_len637_dim1_half_op_CI_CI,@function
bluestein_single_fwd_len637_dim1_half_op_CI_CI: ; @bluestein_single_fwd_len637_dim1_half_op_CI_CI
; %bb.0:
	s_load_b128 s[8:11], s[0:1], 0x28
	v_mul_u32_u24_e32 v1, 0x2d1, v0
	s_mov_b32 s2, exec_lo
	v_mov_b32_e32 v9, 0
	s_delay_alu instid0(VALU_DEP_2) | instskip(NEXT) | instid1(VALU_DEP_1)
	v_lshrrev_b32_e32 v1, 16, v1
	v_add_nc_u32_e32 v8, ttmp9, v1
	s_wait_kmcnt 0x0
	s_delay_alu instid0(VALU_DEP_1)
	v_cmpx_gt_u64_e64 s[8:9], v[8:9]
	s_cbranch_execz .LBB0_15
; %bb.1:
	s_clause 0x1
	s_load_b64 s[20:21], s[0:1], 0x0
	s_load_b64 s[8:9], s[0:1], 0x38
	v_mul_lo_u16 v1, 0x5b, v1
	s_delay_alu instid0(VALU_DEP_1) | instskip(NEXT) | instid1(VALU_DEP_1)
	v_sub_nc_u16 v0, v0, v1
	v_and_b32_e32 v26, 0xffff, v0
	v_cmp_gt_u16_e32 vcc_lo, 49, v0
	s_delay_alu instid0(VALU_DEP_2)
	v_lshlrev_b32_e32 v25, 2, v26
	s_and_saveexec_b32 s3, vcc_lo
	s_cbranch_execz .LBB0_3
; %bb.2:
	s_load_b64 s[4:5], s[0:1], 0x18
	s_wait_kmcnt 0x0
	s_load_b128 s[4:7], s[4:5], 0x0
	s_wait_kmcnt 0x0
	v_mad_co_u64_u32 v[0:1], null, s6, v8, 0
	v_mad_co_u64_u32 v[2:3], null, s4, v26, 0
	s_delay_alu instid0(VALU_DEP_1) | instskip(NEXT) | instid1(VALU_DEP_1)
	v_mad_co_u64_u32 v[4:5], null, s7, v8, v[1:2]
	v_mad_co_u64_u32 v[5:6], null, s5, v26, v[3:4]
	v_mov_b32_e32 v1, v4
	s_mul_u64 s[4:5], s[4:5], 0xc4
	s_clause 0xc
	global_load_b32 v6, v25, s[20:21]
	global_load_b32 v7, v25, s[20:21] offset:196
	global_load_b32 v9, v25, s[20:21] offset:392
	;; [unrolled: 1-line block ×12, first 2 shown]
	v_lshlrev_b64_e32 v[0:1], 2, v[0:1]
	v_mov_b32_e32 v3, v5
	s_delay_alu instid0(VALU_DEP_2) | instskip(NEXT) | instid1(VALU_DEP_2)
	v_add_co_u32 v0, s2, s10, v0
	v_lshlrev_b64_e32 v[2:3], 2, v[2:3]
	s_delay_alu instid0(VALU_DEP_4) | instskip(NEXT) | instid1(VALU_DEP_2)
	v_add_co_ci_u32_e64 v1, s2, s11, v1, s2
	v_add_co_u32 v0, s2, v0, v2
	s_wait_alu 0xf1ff
	s_delay_alu instid0(VALU_DEP_2) | instskip(SKIP_1) | instid1(VALU_DEP_2)
	v_add_co_ci_u32_e64 v1, s2, v1, v3, s2
	s_wait_alu 0xfffe
	v_add_co_u32 v2, s2, v0, s4
	s_wait_alu 0xf1ff
	s_delay_alu instid0(VALU_DEP_2)
	v_add_co_ci_u32_e64 v3, s2, s5, v1, s2
	s_clause 0x1
	global_load_b32 v20, v[0:1], off
	global_load_b32 v21, v[2:3], off
	v_add_co_u32 v0, s2, v2, s4
	s_wait_alu 0xf1ff
	v_add_co_ci_u32_e64 v1, s2, s5, v3, s2
	s_delay_alu instid0(VALU_DEP_2) | instskip(SKIP_1) | instid1(VALU_DEP_2)
	v_add_co_u32 v2, s2, v0, s4
	s_wait_alu 0xf1ff
	v_add_co_ci_u32_e64 v3, s2, s5, v1, s2
	s_clause 0x1
	global_load_b32 v22, v[0:1], off
	global_load_b32 v23, v[2:3], off
	v_add_co_u32 v0, s2, v2, s4
	s_wait_alu 0xf1ff
	v_add_co_ci_u32_e64 v1, s2, s5, v3, s2
	s_delay_alu instid0(VALU_DEP_2) | instskip(SKIP_1) | instid1(VALU_DEP_2)
	v_add_co_u32 v2, s2, v0, s4
	s_wait_alu 0xf1ff
	v_add_co_ci_u32_e64 v3, s2, s5, v1, s2
	global_load_b32 v24, v[0:1], off
	global_load_b32 v27, v[2:3], off
	v_add_co_u32 v0, s2, v2, s4
	s_wait_alu 0xf1ff
	v_add_co_ci_u32_e64 v1, s2, s5, v3, s2
	s_delay_alu instid0(VALU_DEP_2) | instskip(SKIP_1) | instid1(VALU_DEP_2)
	v_add_co_u32 v2, s2, v0, s4
	s_wait_alu 0xf1ff
	v_add_co_ci_u32_e64 v3, s2, s5, v1, s2
	global_load_b32 v28, v[0:1], off
	v_add_co_u32 v0, s2, v2, s4
	s_wait_alu 0xf1ff
	v_add_co_ci_u32_e64 v1, s2, s5, v3, s2
	global_load_b32 v29, v[2:3], off
	;; [unrolled: 4-line block ×4, first 2 shown]
	v_add_co_u32 v2, s2, v0, s4
	s_wait_alu 0xf1ff
	v_add_co_ci_u32_e64 v3, s2, s5, v1, s2
	s_delay_alu instid0(VALU_DEP_2) | instskip(SKIP_1) | instid1(VALU_DEP_2)
	v_add_co_u32 v4, s2, v2, s4
	s_wait_alu 0xf1ff
	v_add_co_ci_u32_e64 v5, s2, s5, v3, s2
	global_load_b32 v0, v[0:1], off
	global_load_b32 v1, v[2:3], off
	;; [unrolled: 1-line block ×3, first 2 shown]
	v_add_nc_u32_e32 v3, 0x400, v25
	s_wait_loadcnt 0x19
	v_lshrrev_b32_e32 v4, 16, v6
	s_wait_loadcnt 0x18
	v_lshrrev_b32_e32 v5, 16, v7
	;; [unrolled: 2-line block ×14, first 2 shown]
	v_mul_f16_e32 v43, v4, v20
	s_wait_loadcnt 0xb
	v_lshrrev_b32_e32 v44, 16, v21
	v_mul_f16_e32 v46, v5, v21
	v_mul_f16_e32 v4, v4, v39
	v_fma_f16 v39, v6, v39, -v43
	s_delay_alu instid0(VALU_DEP_4) | instskip(NEXT) | instid1(VALU_DEP_3)
	v_mul_f16_e32 v5, v5, v44
	v_fmac_f16_e32 v4, v6, v20
	v_fma_f16 v20, v7, v44, -v46
	s_delay_alu instid0(VALU_DEP_3)
	v_fmac_f16_e32 v5, v7, v21
	s_wait_loadcnt 0xa
	v_lshrrev_b32_e32 v6, 16, v22
	v_mul_f16_e32 v43, v32, v22
	s_wait_loadcnt 0x9
	v_lshrrev_b32_e32 v21, 16, v23
	v_pack_b32_f16 v4, v4, v39
	v_pack_b32_f16 v5, v5, v20
	v_mul_f16_e32 v7, v32, v6
	v_mul_f16_e32 v32, v33, v23
	v_fma_f16 v6, v9, v6, -v43
	ds_store_2addr_b32 v25, v4, v5 offset1:49
	v_fmac_f16_e32 v7, v9, v22
	v_mul_f16_e32 v9, v33, v21
	v_fma_f16 v20, v10, v21, -v32
	s_wait_loadcnt 0x8
	v_lshrrev_b32_e32 v21, 16, v24
	v_mul_f16_e32 v22, v34, v24
	v_pack_b32_f16 v4, v7, v6
	v_fmac_f16_e32 v9, v10, v23
	s_wait_loadcnt 0x7
	v_lshrrev_b32_e32 v6, 16, v27
	v_mul_f16_e32 v5, v34, v21
	v_mul_f16_e32 v7, v35, v27
	v_fma_f16 v10, v11, v21, -v22
	v_pack_b32_f16 v9, v9, v20
	s_delay_alu instid0(VALU_DEP_4)
	v_fmac_f16_e32 v5, v11, v24
	v_mul_f16_e32 v11, v35, v6
	v_fma_f16 v6, v12, v6, -v7
	s_wait_loadcnt 0x6
	v_lshrrev_b32_e32 v7, 16, v28
	v_mul_f16_e32 v20, v36, v28
	ds_store_2addr_b32 v25, v4, v9 offset0:98 offset1:147
	v_pack_b32_f16 v4, v5, v10
	v_fmac_f16_e32 v11, v12, v27
	v_mul_f16_e32 v5, v36, v7
	s_wait_loadcnt 0x5
	v_lshrrev_b32_e32 v9, 16, v29
	v_fma_f16 v7, v13, v7, -v20
	v_mul_f16_e32 v10, v37, v29
	s_wait_loadcnt 0x4
	v_lshrrev_b32_e32 v12, 16, v30
	v_fmac_f16_e32 v5, v13, v28
	v_pack_b32_f16 v6, v11, v6
	v_mul_f16_e32 v11, v37, v9
	v_fma_f16 v9, v14, v9, -v10
	v_mul_f16_e32 v10, v38, v30
	v_pack_b32_f16 v5, v5, v7
	v_mul_f16_e32 v7, v38, v12
	v_fmac_f16_e32 v11, v14, v29
	s_wait_loadcnt 0x3
	v_lshrrev_b32_e32 v13, 16, v31
	v_mul_f16_e32 v14, v40, v31
	v_fma_f16 v10, v15, v12, -v10
	v_fmac_f16_e32 v7, v15, v30
	v_pack_b32_f16 v9, v11, v9
	v_mul_f16_e32 v11, v40, v13
	v_fma_f16 v12, v16, v13, -v14
	s_wait_loadcnt 0x2
	v_lshrrev_b32_e32 v13, 16, v0
	v_mul_f16_e32 v14, v41, v0
	v_pack_b32_f16 v7, v7, v10
	s_wait_loadcnt 0x1
	v_lshrrev_b32_e32 v10, 16, v1
	s_wait_loadcnt 0x0
	v_lshrrev_b32_e32 v15, 16, v2
	v_fmac_f16_e32 v11, v16, v31
	v_mul_f16_e32 v16, v41, v13
	v_fma_f16 v13, v17, v13, -v14
	v_mul_f16_e32 v14, v42, v1
	v_mul_f16_e32 v20, v42, v10
	;; [unrolled: 1-line block ×4, first 2 shown]
	v_fmac_f16_e32 v16, v17, v0
	v_fma_f16 v0, v18, v10, -v14
	v_fmac_f16_e32 v20, v18, v1
	v_fmac_f16_e32 v21, v19, v2
	v_fma_f16 v1, v19, v15, -v22
	v_pack_b32_f16 v2, v11, v12
	v_pack_b32_f16 v10, v16, v13
	;; [unrolled: 1-line block ×3, first 2 shown]
	v_add_nc_u32_e32 v11, 0x600, v25
	v_pack_b32_f16 v1, v21, v1
	ds_store_2addr_b32 v25, v4, v6 offset0:196 offset1:245
	ds_store_2addr_b32 v3, v5, v9 offset0:38 offset1:87
	;; [unrolled: 1-line block ×4, first 2 shown]
	ds_store_b32 v25, v1 offset:2352
.LBB0_3:
	s_or_b32 exec_lo, exec_lo, s3
	s_clause 0x1
	s_load_b64 s[2:3], s[0:1], 0x20
	s_load_b64 s[4:5], s[0:1], 0x8
	global_wb scope:SCOPE_SE
	s_wait_dscnt 0x0
	s_wait_kmcnt 0x0
	s_barrier_signal -1
	s_barrier_wait -1
	global_inv scope:SCOPE_SE
                                        ; implicit-def: $vgpr0
                                        ; implicit-def: $vgpr7
                                        ; implicit-def: $vgpr24
                                        ; implicit-def: $vgpr4
                                        ; implicit-def: $vgpr23
                                        ; implicit-def: $vgpr22
                                        ; implicit-def: $vgpr2
                                        ; implicit-def: $vgpr21
                                        ; implicit-def: $vgpr20
                                        ; implicit-def: $vgpr13
                                        ; implicit-def: $vgpr19
                                        ; implicit-def: $vgpr35
                                        ; implicit-def: $vgpr16
                                        ; implicit-def: $vgpr36
                                        ; implicit-def: $vgpr37
                                        ; implicit-def: $vgpr18
                                        ; implicit-def: $vgpr38
                                        ; implicit-def: $vgpr39
                                        ; implicit-def: $vgpr40
	s_and_saveexec_b32 s0, vcc_lo
	s_cbranch_execz .LBB0_5
; %bb.4:
	v_add_nc_u32_e32 v2, 0x400, v25
	v_add_nc_u32_e32 v3, 0x600, v25
	ds_load_2addr_b32 v[0:1], v25 offset1:49
	ds_load_2addr_b32 v[17:18], v25 offset0:98 offset1:147
	ds_load_2addr_b32 v[15:16], v25 offset0:196 offset1:245
	;; [unrolled: 1-line block ×5, first 2 shown]
	ds_load_b32 v13, v25 offset:2352
	s_wait_dscnt 0x5
	v_lshrrev_b32_e32 v39, 16, v17
	v_lshrrev_b32_e32 v40, 16, v1
	;; [unrolled: 1-line block ×3, first 2 shown]
	s_wait_dscnt 0x4
	v_lshrrev_b32_e32 v37, 16, v15
	v_lshrrev_b32_e32 v36, 16, v16
	s_wait_dscnt 0x3
	v_lshrrev_b32_e32 v35, 16, v6
	v_lshrrev_b32_e32 v24, 16, v7
	;; [unrolled: 3-line block ×4, first 2 shown]
	s_wait_dscnt 0x0
	v_lshrrev_b32_e32 v19, 16, v13
.LBB0_5:
	s_wait_alu 0xfffe
	s_or_b32 exec_lo, exec_lo, s0
	s_delay_alu instid0(VALU_DEP_1)
	v_sub_f16_e32 v9, v40, v19
	v_sub_f16_e32 v10, v1, v13
	v_add_f16_e32 v80, v13, v1
	v_add_f16_e32 v81, v19, v40
	v_sub_f16_e32 v33, v39, v20
	v_mul_f16_e32 v41, 0xb770, v9
	v_mul_f16_e32 v42, 0xb770, v10
	;; [unrolled: 1-line block ×5, first 2 shown]
	v_sub_f16_e32 v34, v17, v3
	v_lshrrev_b32_e32 v43, 16, v0
	v_fmamk_f16 v11, v80, 0x3b15, v41
	v_fma_f16 v12, v81, 0x3b15, -v42
	v_fmamk_f16 v14, v80, 0x388b, v46
	v_mul_f16_e32 v52, 0xbb7b, v9
	v_fmamk_f16 v28, v80, 0x2fb7, v48
	v_mul_f16_e32 v60, 0xb94e, v9
	v_fma_f16 v50, v81, 0xb9fd, -v65
	v_add_f16_e32 v72, v3, v17
	v_mul_f16_e32 v44, 0xba95, v33
	v_add_f16_e32 v71, v20, v39
	v_mul_f16_e32 v45, 0xba95, v34
	v_mul_f16_e32 v49, 0xbb7b, v33
	;; [unrolled: 1-line block ×3, first 2 shown]
	v_sub_f16_e32 v84, v38, v21
	v_mul_f16_e32 v47, 0xba95, v10
	v_add_f16_e32 v11, v11, v0
	v_add_f16_e32 v12, v12, v43
	;; [unrolled: 1-line block ×3, first 2 shown]
	v_mul_f16_e32 v51, 0xbbf1, v10
	v_mul_f16_e32 v56, 0xbb7b, v10
	v_fmamk_f16 v30, v80, 0xb5ac, v52
	v_add_f16_e32 v28, v28, v0
	v_fmamk_f16 v32, v80, 0xb9fd, v60
	v_add_f16_e32 v67, v50, v43
	v_fmamk_f16 v50, v72, 0x388b, v44
	v_mul_f16_e32 v74, 0xb3a8, v9
	v_fma_f16 v9, v71, 0x388b, -v45
	v_fmamk_f16 v53, v72, 0xb5ac, v49
	v_mul_f16_e32 v82, 0xb3a8, v10
	v_mul_f16_e32 v57, 0x394e, v33
	v_mul_f16_e32 v68, 0x3bf1, v33
	v_fmamk_f16 v10, v72, 0xbbc4, v55
	v_add_f16_e32 v78, v2, v18
	v_mul_f16_e32 v54, 0xb3a8, v84
	v_add_f16_e32 v30, v30, v0
	v_add_f16_e32 v32, v32, v0
	;; [unrolled: 1-line block ×5, first 2 shown]
	v_fmamk_f16 v11, v72, 0xb9fd, v57
	v_fmamk_f16 v12, v72, 0x2fb7, v68
	v_add_f16_e32 v10, v10, v28
	v_fmamk_f16 v28, v78, 0xbbc4, v54
	v_mul_f16_e32 v62, 0x3770, v84
	v_add_f16_e32 v11, v11, v30
	v_add_f16_e32 v12, v12, v32
	v_mul_f16_e32 v59, 0x3b7b, v84
	v_mul_f16_e32 v73, 0xba95, v84
	v_add_f16_e32 v9, v28, v9
	v_sub_f16_e32 v28, v37, v22
	v_fmamk_f16 v32, v78, 0x3b15, v62
	v_fmamk_f16 v30, v78, 0xb5ac, v59
	v_fmamk_f16 v58, v78, 0x388b, v73
	v_add_f16_e32 v83, v5, v15
	v_mul_f16_e32 v53, 0x394e, v28
	v_add_f16_e32 v11, v32, v11
	v_mul_f16_e32 v64, 0x3770, v28
	v_sub_f16_e32 v32, v36, v23
	v_mul_f16_e32 v70, 0xbbf1, v28
	v_add_f16_e32 v10, v30, v10
	v_add_f16_e32 v12, v58, v12
	v_fmamk_f16 v30, v83, 0xb9fd, v53
	v_fmamk_f16 v63, v83, 0x3b15, v64
	v_mul_f16_e32 v85, 0x33a8, v28
	v_add_f16_e32 v89, v4, v16
	v_mul_f16_e32 v58, 0x3bf1, v32
	v_fmamk_f16 v66, v83, 0x2fb7, v70
	v_add_f16_e32 v9, v30, v9
	v_add_f16_e32 v10, v63, v10
	v_fmamk_f16 v30, v83, 0xbbc4, v85
	v_fmamk_f16 v63, v89, 0x2fb7, v58
	v_add_f16_e32 v11, v66, v11
	v_mul_f16_e32 v66, 0xba95, v32
	v_mul_f16_e32 v75, 0x33a8, v32
	v_sub_f16_e32 v124, v35, v24
	v_add_f16_e32 v12, v30, v12
	v_add_f16_e32 v9, v63, v9
	v_fmamk_f16 v30, v89, 0x388b, v66
	v_fmamk_f16 v69, v89, 0xbbc4, v75
	v_mul_f16_e32 v94, 0x3770, v32
	v_add_f16_e32 v93, v7, v6
	v_mul_f16_e32 v63, 0x3770, v124
	v_mul_f16_e32 v77, 0xb94e, v124
	v_fma_f16 v27, v81, 0x388b, -v47
	v_fma_f16 v29, v81, 0x2fb7, -v51
	v_mul_f16_e32 v50, 0xbb7b, v34
	v_mul_f16_e32 v61, 0xb3a8, v34
	v_add_f16_e32 v30, v30, v10
	v_add_f16_e32 v11, v69, v11
	v_fmamk_f16 v10, v89, 0x3b15, v94
	v_fmamk_f16 v69, v93, 0x3b15, v63
	v_mul_f16_e32 v86, 0x3a95, v124
	v_mul_f16_e32 v96, 0xbb7b, v124
	v_fmamk_f16 v87, v93, 0xb9fd, v77
	v_add_f16_e32 v27, v27, v43
	v_fma_f16 v31, v81, 0xb5ac, -v56
	v_add_f16_e32 v29, v29, v43
	v_fma_f16 v14, v71, 0xb5ac, -v50
	v_add_f16_e32 v88, v10, v12
	v_add_f16_e32 v10, v69, v9
	v_fmamk_f16 v12, v93, 0x388b, v86
	v_fmamk_f16 v69, v93, 0xb5ac, v96
	v_add_f16_e32 v9, v87, v30
	v_fma_f16 v30, v71, 0xbbc4, -v61
	v_mul_f16_e32 v99, 0x394e, v34
	v_mul_f16_e32 v103, 0x3bf1, v34
	v_add_f16_e32 v31, v31, v43
	v_add_f16_e32 v12, v12, v11
	;; [unrolled: 1-line block ×3, first 2 shown]
	v_fmamk_f16 v69, v80, 0xbbc4, v74
	v_add_f16_e32 v14, v14, v27
	v_fma_f16 v27, v71, 0xb9fd, -v99
	v_add_f16_e32 v29, v30, v29
	v_fma_f16 v30, v71, 0x2fb7, -v103
	v_mul_f16_e32 v109, 0x3770, v33
	v_sub_f16_e32 v87, v18, v2
	v_add_f16_e32 v33, v69, v0
	v_add_f16_e32 v27, v27, v31
	v_fma_f16 v31, v81, 0xbbc4, -v82
	v_add_f16_e32 v30, v30, v67
	v_fmamk_f16 v88, v72, 0x3b15, v109
	v_mul_f16_e32 v116, 0x3770, v34
	v_mul_f16_e32 v67, 0xbbf1, v84
	v_add_f16_e32 v106, v21, v38
	v_mul_f16_e32 v69, 0xbbf1, v87
	v_add_f16_e32 v31, v31, v43
	v_fma_f16 v34, v71, 0x3b15, -v116
	v_fmamk_f16 v91, v78, 0x2fb7, v67
	v_add_f16_e32 v33, v88, v33
	v_fma_f16 v88, v106, 0x2fb7, -v69
	v_mul_f16_e32 v98, 0x3b7b, v87
	v_mul_f16_e32 v108, 0xba95, v87
	;; [unrolled: 1-line block ×3, first 2 shown]
	v_add_f16_e32 v31, v34, v31
	v_add_f16_e32 v34, v91, v76
	;; [unrolled: 1-line block ×3, first 2 shown]
	v_fma_f16 v79, v106, 0xb5ac, -v98
	v_mul_f16_e32 v114, 0xb94e, v84
	v_fma_f16 v84, v106, 0x388b, -v108
	v_fma_f16 v76, v106, 0xbbc4, -v90
	v_mul_f16_e32 v101, 0x3770, v87
	v_add_f16_e32 v29, v79, v29
	v_fmamk_f16 v79, v78, 0xb9fd, v114
	v_mul_f16_e32 v118, 0xb94e, v87
	v_add_f16_e32 v30, v84, v30
	v_sub_f16_e32 v84, v15, v5
	v_add_f16_e32 v14, v76, v14
	v_fma_f16 v76, v106, 0x3b15, -v101
	v_add_f16_e32 v33, v79, v33
	v_fma_f16 v87, v106, 0xb9fd, -v118
	v_add_f16_e32 v110, v22, v37
	v_mul_f16_e32 v79, 0xbb7b, v84
	v_add_f16_e32 v27, v76, v27
	v_mul_f16_e32 v76, 0xbb7b, v28
	v_mul_f16_e32 v88, 0x394e, v84
	v_add_f16_e32 v31, v87, v31
	v_fma_f16 v87, v110, 0xb5ac, -v79
	v_mul_f16_e32 v104, 0xbbf1, v84
	v_mul_f16_e32 v111, 0x33a8, v84
	;; [unrolled: 1-line block ×3, first 2 shown]
	v_fmamk_f16 v92, v83, 0xb5ac, v76
	v_fma_f16 v95, v110, 0xb9fd, -v88
	v_add_f16_e32 v91, v87, v91
	v_fma_f16 v87, v110, 0x2fb7, -v104
	v_mul_f16_e32 v119, 0x3a95, v28
	v_mul_f16_e32 v120, 0x3a95, v84
	;; [unrolled: 1-line block ×3, first 2 shown]
	v_fma_f16 v28, v110, 0xbbc4, -v111
	v_add_f16_e32 v34, v92, v34
	v_add_f16_e32 v14, v95, v14
	;; [unrolled: 1-line block ×3, first 2 shown]
	v_fmamk_f16 v87, v83, 0x388b, v119
	v_fmamk_f16 v95, v89, 0xb9fd, v84
	v_add_f16_e32 v28, v28, v30
	v_sub_f16_e32 v30, v16, v4
	v_fma_f16 v97, v110, 0x3b15, -v100
	v_fma_f16 v92, v110, 0x388b, -v120
	v_add_f16_e32 v33, v87, v33
	v_add_f16_e32 v34, v95, v34
	;; [unrolled: 1-line block ×3, first 2 shown]
	v_mul_f16_e32 v87, 0xb94e, v30
	v_mul_f16_e32 v95, 0x3bf1, v30
	;; [unrolled: 1-line block ×3, first 2 shown]
	v_add_f16_e32 v29, v97, v29
	v_add_f16_e32 v31, v92, v31
	v_mul_f16_e32 v102, 0xba95, v30
	v_fma_f16 v92, v113, 0xb9fd, -v87
	v_fma_f16 v97, v113, 0x2fb7, -v95
	;; [unrolled: 1-line block ×3, first 2 shown]
	v_sub_f16_e32 v125, v6, v7
	v_mul_f16_e32 v105, 0x33a8, v30
	v_fma_f16 v107, v113, 0x388b, -v102
	v_add_f16_e32 v121, v92, v91
	v_add_f16_e32 v14, v97, v14
	;; [unrolled: 1-line block ×3, first 2 shown]
	v_mul_f16_e32 v122, 0xbb7b, v32
	v_mul_f16_e32 v123, 0xbb7b, v30
	;; [unrolled: 1-line block ×3, first 2 shown]
	v_add_f16_e32 v115, v24, v35
	v_mul_f16_e32 v92, 0xb3a8, v125
	v_mul_f16_e32 v97, 0x3770, v125
	v_fma_f16 v112, v113, 0xbbc4, -v105
	v_add_f16_e32 v126, v107, v29
	v_fmamk_f16 v28, v89, 0xb5ac, v122
	v_fma_f16 v29, v113, 0xb5ac, -v123
	v_fmamk_f16 v30, v93, 0xbbc4, v91
	v_fma_f16 v32, v115, 0xbbc4, -v92
	v_fma_f16 v107, v115, 0x3b15, -v97
	v_add_f16_e32 v27, v112, v27
	v_add_f16_e64 v128, v28, v33
	v_add_f16_e64 v129, v29, v31
	v_add_f16_e32 v28, v30, v34
	v_add_f16_e32 v29, v32, v121
	;; [unrolled: 1-line block ×3, first 2 shown]
	v_mul_f16_e32 v107, 0xb94e, v125
	v_mul_f16_e32 v112, 0x3a95, v125
	v_mul_f16_e32 v121, 0xbb7b, v125
	v_mul_f16_e32 v125, 0x3bf1, v125
	v_mul_f16_e32 v124, 0x3bf1, v124
	v_fma_f16 v14, v115, 0xb9fd, -v107
	v_fma_f16 v32, v115, 0x388b, -v112
	v_fma_f16 v33, v115, 0xb5ac, -v121
	v_fma_f16 v34, v115, 0x2fb7, -v125
	v_fma_f16 v130, 0x2fb7, v93, v124
	v_add_f16_e32 v31, v14, v126
	v_add_f16_e32 v32, v32, v27
	;; [unrolled: 1-line block ×3, first 2 shown]
	v_add_f16_e64 v34, v34, v129
	v_add_f16_e64 v14, v130, v128
	v_mul_lo_u16 v27, v26, 13
	global_wb scope:SCOPE_SE
	s_barrier_signal -1
	s_barrier_wait -1
	global_inv scope:SCOPE_SE
	s_and_saveexec_b32 s0, vcc_lo
	s_cbranch_execz .LBB0_7
; %bb.6:
	v_mul_f16_e64 v133, 0xbbc4, v81
	v_mul_f16_e32 v126, 0x3b15, v80
	v_mul_f16_e64 v128, 0x388b, v80
	v_mul_f16_e64 v130, 0x2fb7, v80
	;; [unrolled: 1-line block ×3, first 2 shown]
	v_add_f16_e64 v82, v82, v133
	v_mul_f16_e64 v133, 0x3b15, v71
	v_mul_f16_e64 v135, 0xb9fd, v80
	v_mul_f16_e32 v80, 0xbbc4, v80
	v_mul_f16_e64 v139, 0xb9fd, v106
	v_add_f16_e32 v82, v82, v43
	v_add_f16_e64 v116, v116, v133
	v_mul_f16_e32 v127, 0x3b15, v81
	v_sub_f16_e32 v74, v80, v74
	v_add_f16_e64 v118, v118, v139
	v_mul_f16_e64 v129, 0x388b, v81
	v_add_f16_e32 v82, v116, v82
	v_mul_f16_e32 v116, 0x3b15, v72
	v_add_f16_e32 v74, v74, v0
	v_mul_f16_e64 v131, 0x2fb7, v81
	v_mul_f16_e64 v134, 0xb5ac, v81
	v_add_f16_e32 v82, v118, v82
	v_sub_f16_e32 v109, v116, v109
	v_mul_f16_e32 v116, 0x388b, v110
	v_mul_f16_e32 v118, 0xb9fd, v78
	;; [unrolled: 1-line block ×3, first 2 shown]
	v_mul_f16_e64 v137, 0x388b, v71
	v_add_f16_e32 v74, v109, v74
	v_add_f16_e32 v116, v120, v116
	v_sub_f16_e32 v114, v118, v114
	v_mul_f16_e64 v133, 0xb5ac, v71
	v_mul_f16_e64 v141, 0xbbc4, v71
	v_mul_f16_e32 v80, 0xb9fd, v71
	v_add_f16_e32 v82, v116, v82
	v_mul_f16_e32 v116, 0x388b, v83
	v_mul_f16_e32 v71, 0x2fb7, v71
	v_add_f16_e32 v74, v114, v74
	v_add_f16_e32 v65, v65, v81
	v_mul_f16_e32 v118, 0x2fb7, v106
	v_sub_f16_e32 v116, v116, v119
	v_mul_f16_e32 v119, 0xbbc4, v106
	v_mul_f16_e32 v81, 0x3b15, v106
	v_add_f16_e32 v71, v103, v71
	v_add_f16_e32 v65, v65, v43
	;; [unrolled: 1-line block ×3, first 2 shown]
	v_mul_f16_e32 v116, 0xb5ac, v106
	v_mul_f16_e32 v106, 0x388b, v106
	v_mul_f16_e64 v138, 0xb5ac, v72
	v_mul_f16_e32 v109, 0xb5ac, v113
	v_add_f16_e32 v65, v71, v65
	v_sub_f16_e64 v46, v128, v46
	v_add_f16_e32 v106, v108, v106
	v_sub_f16_e64 v49, v138, v49
	v_add_f16_e32 v109, v123, v109
	v_mul_f16_e32 v123, 0xbbc4, v78
	v_add_f16_e32 v46, v46, v0
	v_add_f16_e32 v65, v106, v65
	v_mul_f16_e32 v106, 0xbbc4, v110
	v_add_f16_e32 v40, v40, v43
	;; [unrolled: 3-line block ×3, first 2 shown]
	v_add_f16_e32 v106, v111, v106
	v_mul_f16_e32 v111, 0x3b15, v113
	v_sub_f16_e32 v49, v123, v54
	v_add_f16_e32 v39, v39, v40
	v_add_f16_e32 v1, v17, v1
	v_sub_f16_e32 v17, v71, v53
	v_add_f16_e32 v111, v117, v111
	v_mul_f16_e32 v117, 0x2fb7, v89
	v_add_f16_e32 v46, v49, v46
	v_add_f16_e32 v38, v38, v39
	;; [unrolled: 1-line block ×4, first 2 shown]
	v_mul_f16_e32 v99, 0x3b15, v93
	v_add_f16_e32 v17, v17, v46
	v_sub_f16_e32 v18, v117, v58
	v_add_f16_e32 v37, v37, v38
	v_add_f16_e32 v1, v15, v1
	;; [unrolled: 1-line block ×3, first 2 shown]
	v_mul_f16_e32 v109, 0xb5ac, v89
	v_add_f16_e32 v17, v18, v17
	v_sub_f16_e32 v18, v99, v63
	v_add_f16_e32 v36, v36, v37
	v_add_f16_e32 v1, v16, v1
	;; [unrolled: 1-line block ×3, first 2 shown]
	v_mul_f16_e64 v136, 0x388b, v72
	v_add_f16_e32 v17, v18, v17
	v_add_f16_e32 v18, v35, v36
	v_add_f16_e32 v1, v6, v1
	v_sub_f16_e64 v60, v135, v60
	v_sub_f16_e64 v52, v132, v52
	;; [unrolled: 1-line block ×3, first 2 shown]
	v_sub_f16_e32 v6, v126, v41
	v_add_f16_e32 v16, v16, v43
	v_add_f16_e64 v35, v45, v137
	v_add_f16_e32 v18, v24, v18
	v_add_f16_e32 v1, v7, v1
	v_mul_f16_e64 v140, 0xbbc4, v72
	v_mul_f16_e64 v139, 0xb9fd, v72
	v_mul_f16_e32 v72, 0x2fb7, v72
	v_mul_f16_e32 v114, 0x2fb7, v115
	v_add_f16_e64 v47, v47, v129
	v_sub_f16_e32 v109, v109, v122
	v_mul_f16_e32 v103, 0x2fb7, v93
	v_add_f16_e64 v56, v56, v134
	v_add_f16_e64 v51, v51, v131
	v_mul_f16_e32 v120, 0x2fb7, v78
	v_add_f16_e32 v60, v60, v0
	v_add_f16_e32 v52, v52, v0
	;; [unrolled: 1-line block ×4, first 2 shown]
	v_sub_f16_e64 v6, v136, v44
	v_add_f16_e32 v7, v35, v16
	v_add_f16_e32 v16, v23, v18
	;; [unrolled: 1-line block ×4, first 2 shown]
	v_mul_f16_e32 v125, 0xb5ac, v78
	v_mul_f16_e32 v122, 0x3b15, v78
	;; [unrolled: 1-line block ×3, first 2 shown]
	v_sub_f16_e32 v68, v72, v68
	v_add_f16_e32 v47, v47, v43
	v_add_f16_e64 v50, v50, v133
	v_add_f16_e32 v74, v109, v74
	v_sub_f16_e32 v103, v103, v124
	v_add_f16_e32 v56, v56, v43
	v_sub_f16_e64 v57, v139, v57
	v_add_f16_e32 v51, v51, v43
	v_add_f16_e64 v61, v61, v141
	v_sub_f16_e64 v55, v140, v55
	v_mul_f16_e32 v124, 0xb5ac, v110
	v_add_f16_e32 v4, v69, v118
	v_add_f16_e32 v0, v6, v0
	v_sub_f16_e32 v6, v120, v67
	v_add_f16_e32 v16, v22, v16
	v_add_f16_e32 v1, v5, v1
	v_mul_f16_e32 v109, 0xb5ac, v83
	v_mul_f16_e32 v108, 0xb9fd, v110
	v_add_f16_e32 v82, v114, v82
	v_mul_f16_e32 v114, 0x3b15, v83
	v_mul_f16_e64 v135, 0x2fb7, v83
	v_mul_f16_e32 v83, 0xbbc4, v83
	v_add_f16_e32 v60, v68, v60
	v_sub_f16_e32 v73, v78, v73
	v_add_f16_e32 v47, v50, v47
	v_add_f16_e32 v50, v90, v119
	;; [unrolled: 1-line block ×3, first 2 shown]
	v_mul_f16_e32 v103, 0x3b15, v110
	v_mul_f16_e32 v110, 0x2fb7, v110
	v_add_f16_e32 v65, v106, v65
	v_mul_f16_e32 v68, 0xb5ac, v115
	v_add_f16_e32 v56, v80, v56
	v_add_f16_e32 v81, v101, v81
	;; [unrolled: 1-line block ×3, first 2 shown]
	v_sub_f16_e32 v57, v122, v62
	v_add_f16_e32 v51, v61, v51
	v_add_f16_e32 v61, v98, v116
	;; [unrolled: 1-line block ×3, first 2 shown]
	v_sub_f16_e32 v55, v125, v59
	v_mul_f16_e32 v106, 0xb9fd, v113
	v_add_f16_e32 v4, v4, v7
	v_add_f16_e32 v5, v79, v124
	;; [unrolled: 1-line block ×5, first 2 shown]
	v_mul_f16_e32 v72, 0xb9fd, v89
	v_mul_f16_e32 v78, 0x2fb7, v113
	v_add_f16_e32 v60, v73, v60
	v_sub_f16_e32 v83, v83, v85
	v_add_f16_e32 v47, v50, v47
	v_add_f16_e32 v50, v88, v108
	v_sub_f16_e32 v2, v109, v76
	v_add_f16_e32 v65, v111, v65
	v_mul_f16_e32 v111, 0x388b, v89
	v_add_f16_e32 v68, v121, v68
	v_mul_f16_e32 v121, 0x388b, v113
	v_mul_f16_e32 v73, 0xbbc4, v89
	;; [unrolled: 1-line block ×4, first 2 shown]
	v_add_f16_e32 v56, v81, v56
	v_add_f16_e32 v81, v104, v110
	v_add_f16_e32 v52, v57, v52
	v_sub_f16_e64 v57, v135, v70
	v_add_f16_e32 v51, v61, v51
	v_add_f16_e32 v61, v100, v103
	;; [unrolled: 1-line block ×3, first 2 shown]
	v_sub_f16_e32 v55, v114, v64
	v_add_f16_e32 v4, v5, v4
	v_add_f16_e32 v5, v87, v106
	;; [unrolled: 1-line block ×4, first 2 shown]
	v_mul_f16_e64 v134, 0xbbc4, v93
	v_mul_f16_e32 v85, 0xbbc4, v115
	v_add_f16_e32 v60, v83, v60
	v_mul_f16_e32 v83, 0x3b15, v115
	v_add_f16_e32 v40, v50, v47
	v_add_f16_e32 v47, v95, v78
	;; [unrolled: 1-line block ×3, first 2 shown]
	v_sub_f16_e32 v2, v72, v84
	v_sub_f16_e32 v89, v89, v94
	v_mul_f16_e32 v94, 0xb9fd, v93
	v_mul_f16_e32 v80, 0xb5ac, v93
	;; [unrolled: 1-line block ×5, first 2 shown]
	v_add_f16_e32 v65, v68, v65
	v_add_f16_e32 v56, v81, v56
	;; [unrolled: 1-line block ×4, first 2 shown]
	v_sub_f16_e32 v57, v73, v75
	v_add_f16_e32 v51, v61, v51
	v_add_f16_e32 v61, v102, v121
	;; [unrolled: 1-line block ×3, first 2 shown]
	v_sub_f16_e32 v55, v111, v66
	v_add_f16_e32 v3, v5, v4
	v_add_f16_e32 v4, v19, v6
	;; [unrolled: 1-line block ×7, first 2 shown]
	v_sub_f16_e64 v2, v134, v91
	v_add_f16_e32 v56, v68, v56
	v_add_f16_e32 v68, v112, v115
	;; [unrolled: 1-line block ×3, first 2 shown]
	v_sub_f16_e32 v57, v93, v86
	v_add_f16_e32 v51, v61, v51
	v_add_f16_e32 v59, v107, v101
	;; [unrolled: 1-line block ×3, first 2 shown]
	v_sub_f16_e32 v55, v94, v77
	v_add_f16_e32 v60, v89, v60
	v_sub_f16_e32 v80, v80, v96
	v_lshlrev_b32_e32 v4, 16, v4
	v_and_b32_e32 v1, 0xffff, v1
	v_and_b32_e32 v6, 0xffff, v27
	v_add_f16_e32 v15, v15, v39
	v_add_f16_e32 v3, v5, v3
	;; [unrolled: 1-line block ×8, first 2 shown]
	v_or_b32_e32 v1, v4, v1
	v_lshlrev_b32_e32 v4, 2, v6
	v_pack_b32_f16 v5, v17, v15
	v_pack_b32_f16 v0, v0, v3
	;; [unrolled: 1-line block ×6, first 2 shown]
	v_perm_b32 v13, v33, v11, 0x5040100
	v_perm_b32 v15, v34, v14, 0x5040100
	;; [unrolled: 1-line block ×6, first 2 shown]
	ds_store_b32 v4, v1
	ds_store_2addr_b32 v4, v0, v5 offset0:1 offset1:2
	ds_store_2addr_b32 v4, v2, v3 offset0:3 offset1:4
	;; [unrolled: 1-line block ×6, first 2 shown]
.LBB0_7:
	s_wait_alu 0xfffe
	s_or_b32 exec_lo, exec_lo, s0
	v_and_b32_e32 v0, 0xff, v26
	s_load_b128 s[0:3], s[2:3], 0x0
	global_wb scope:SCOPE_SE
	s_wait_dscnt 0x0
	s_wait_kmcnt 0x0
	s_barrier_signal -1
	s_barrier_wait -1
	v_mul_lo_u16 v0, 0x4f, v0
	global_inv scope:SCOPE_SE
	v_add_nc_u32_e32 v55, 0x200, v25
	v_add_nc_u32_e32 v54, 0x400, v25
	v_mad_co_u64_u32 v[19:20], null, v26, 24, s[4:5]
	v_lshrrev_b16 v13, 10, v0
	s_delay_alu instid0(VALU_DEP_1) | instskip(SKIP_1) | instid1(VALU_DEP_2)
	v_mul_lo_u16 v0, v13, 13
	v_and_b32_e32 v13, 0xffff, v13
	v_sub_nc_u16 v0, v26, v0
	s_delay_alu instid0(VALU_DEP_2) | instskip(NEXT) | instid1(VALU_DEP_2)
	v_mul_u32_u24_e32 v13, 0x5b, v13
	v_and_b32_e32 v21, 0xff, v0
	s_delay_alu instid0(VALU_DEP_1) | instskip(NEXT) | instid1(VALU_DEP_3)
	v_mul_u32_u24_e32 v0, 6, v21
	v_add_lshl_u32 v35, v13, v21, 2
	s_delay_alu instid0(VALU_DEP_2)
	v_lshlrev_b32_e32 v4, 2, v0
	s_clause 0x1
	global_load_b128 v[0:3], v4, s[4:5]
	global_load_b64 v[15:16], v4, s[4:5] offset:16
	ds_load_2addr_b32 v[4:5], v25 offset1:91
	ds_load_b32 v22, v25 offset:2184
	ds_load_2addr_b32 v[6:7], v55 offset0:54 offset1:145
	ds_load_2addr_b32 v[17:18], v54 offset0:108 offset1:199
	global_wb scope:SCOPE_SE
	s_wait_loadcnt_dscnt 0x0
	s_barrier_signal -1
	s_barrier_wait -1
	global_inv scope:SCOPE_SE
	v_lshrrev_b32_e32 v24, 16, v22
	v_lshrrev_b32_e32 v23, 16, v5
	;; [unrolled: 1-line block ×13, first 2 shown]
	v_mul_f16_e32 v13, v23, v41
	v_mul_f16_e32 v21, v5, v41
	;; [unrolled: 1-line block ×12, first 2 shown]
	v_fma_f16 v5, v5, v0, -v13
	v_fmac_f16_e32 v21, v23, v0
	v_fma_f16 v6, v6, v1, -v47
	v_fmac_f16_e32 v48, v43, v1
	v_fma_f16 v13, v17, v3, -v51
	v_fma_f16 v17, v22, v16, -v57
	v_fmac_f16_e32 v58, v24, v16
	v_fma_f16 v18, v18, v15, -v53
	v_fmac_f16_e32 v56, v46, v15
	;; [unrolled: 2-line block ×3, first 2 shown]
	v_fmac_f16_e32 v52, v45, v3
	v_add_f16_e32 v22, v5, v17
	v_add_f16_e32 v23, v21, v58
	v_sub_f16_e32 v5, v5, v17
	v_sub_f16_e32 v17, v21, v58
	v_add_f16_e32 v21, v6, v18
	v_add_f16_e32 v24, v48, v56
	v_sub_f16_e32 v6, v6, v18
	v_sub_f16_e32 v18, v48, v56
	;; [unrolled: 4-line block ×4, first 2 shown]
	v_sub_f16_e32 v22, v22, v43
	v_sub_f16_e32 v23, v23, v44
	;; [unrolled: 1-line block ×4, first 2 shown]
	v_add_f16_e32 v49, v7, v6
	v_add_f16_e32 v50, v13, v18
	v_sub_f16_e32 v51, v7, v6
	v_sub_f16_e32 v52, v13, v18
	;; [unrolled: 1-line block ×3, first 2 shown]
	v_add_f16_e32 v43, v43, v45
	v_add_f16_e32 v44, v44, v46
	v_sub_f16_e32 v6, v6, v5
	v_sub_f16_e32 v7, v5, v7
	;; [unrolled: 1-line block ×3, first 2 shown]
	v_add_f16_e32 v5, v49, v5
	v_add_f16_e32 v17, v50, v17
	v_mul_f16_e32 v22, 0x3a52, v22
	v_mul_f16_e32 v23, 0x3a52, v23
	;; [unrolled: 1-line block ×7, first 2 shown]
	v_add_f16_e32 v4, v43, v4
	v_add_f16_e32 v42, v44, v42
	v_mul_f16_e32 v51, 0x3b00, v6
	v_fmamk_f16 v21, v21, 0x2b26, v22
	v_fmamk_f16 v24, v24, 0x2b26, v23
	v_fma_f16 v45, v47, 0x39e0, -v45
	v_fma_f16 v46, v48, 0x39e0, -v46
	;; [unrolled: 1-line block ×4, first 2 shown]
	v_fmamk_f16 v47, v7, 0x3574, v49
	v_fmamk_f16 v48, v13, 0x3574, v50
	v_fma_f16 v6, v6, 0x3b00, -v49
	v_fma_f16 v18, v18, 0x3b00, -v50
	v_fma_f16 v13, v13, 0xb574, -v52
	v_lshlrev_b32_e32 v49, 16, v42
	v_and_b32_e32 v50, 0xffff, v4
	v_fmac_f16_e32 v4, 0xbcab, v43
	v_fmac_f16_e32 v42, 0xbcab, v44
	v_fma_f16 v7, v7, 0xb574, -v51
	v_fmac_f16_e32 v47, 0x370e, v5
	v_fmac_f16_e32 v48, 0x370e, v17
	;; [unrolled: 1-line block ×4, first 2 shown]
	v_add_f16_e32 v17, v21, v4
	v_add_f16_e32 v21, v24, v42
	v_fmac_f16_e32 v6, 0x370e, v5
	v_fmac_f16_e32 v7, 0x370e, v5
	v_add_f16_e32 v24, v45, v4
	v_add_f16_e32 v4, v22, v4
	;; [unrolled: 1-line block ×5, first 2 shown]
	v_sub_f16_e32 v43, v21, v47
	v_or_b32_e32 v5, v49, v50
	v_add_f16_e32 v44, v13, v4
	v_sub_f16_e32 v45, v22, v7
	v_sub_f16_e32 v46, v24, v18
	v_add_f16_e32 v49, v6, v23
	v_add_f16_e32 v18, v18, v24
	v_sub_f16_e32 v6, v23, v6
	v_sub_f16_e32 v4, v4, v13
	v_add_f16_e32 v7, v7, v22
	v_sub_f16_e32 v13, v17, v48
	v_add_f16_e32 v17, v47, v21
	v_pack_b32_f16 v21, v42, v43
	v_pack_b32_f16 v22, v44, v45
	;; [unrolled: 1-line block ×6, first 2 shown]
	ds_store_2addr_b32 v35, v5, v21 offset1:13
	ds_store_2addr_b32 v35, v22, v23 offset0:26 offset1:39
	ds_store_2addr_b32 v35, v6, v4 offset0:52 offset1:65
	ds_store_b32 v35, v7 offset:312
	global_wb scope:SCOPE_SE
	s_wait_dscnt 0x0
	s_barrier_signal -1
	s_barrier_wait -1
	global_inv scope:SCOPE_SE
	s_clause 0x1
	global_load_b128 v[4:7], v[19:20], off offset:312
	global_load_b64 v[17:18], v[19:20], off offset:328
	ds_load_2addr_b32 v[19:20], v25 offset1:91
	ds_load_2addr_b32 v[21:22], v55 offset0:54 offset1:145
	ds_load_2addr_b32 v[23:24], v54 offset0:108 offset1:199
	ds_load_b32 v13, v25 offset:2184
	s_wait_dscnt 0x3
	v_lshrrev_b32_e32 v48, 16, v20
	s_wait_dscnt 0x2
	v_lshrrev_b32_e32 v49, 16, v21
	;; [unrolled: 2-line block ×4, first 2 shown]
	v_lshrrev_b32_e32 v50, 16, v22
	v_lshrrev_b32_e32 v51, 16, v23
	;; [unrolled: 1-line block ×3, first 2 shown]
	s_wait_loadcnt 0x1
	v_lshrrev_b32_e32 v47, 16, v4
	v_lshrrev_b32_e32 v46, 16, v5
	s_wait_loadcnt 0x0
	v_lshrrev_b32_e32 v42, 16, v17
	v_lshrrev_b32_e32 v44, 16, v18
	;; [unrolled: 1-line block ×4, first 2 shown]
	v_mul_f16_e32 v57, v48, v47
	v_mul_f16_e32 v58, v20, v47
	v_mul_f16_e32 v59, v49, v46
	v_mul_f16_e32 v60, v21, v46
	v_mul_f16_e32 v65, v52, v42
	v_mul_f16_e32 v66, v24, v42
	v_mul_f16_e32 v67, v53, v44
	v_mul_f16_e32 v68, v13, v44
	v_mul_f16_e32 v61, v50, v45
	v_mul_f16_e32 v62, v22, v45
	v_mul_f16_e32 v63, v51, v43
	v_mul_f16_e32 v64, v23, v43
	v_fma_f16 v20, v20, v4, -v57
	v_fmac_f16_e32 v58, v48, v4
	v_fma_f16 v21, v21, v5, -v59
	v_fmac_f16_e32 v60, v49, v5
	;; [unrolled: 2-line block ×6, first 2 shown]
	v_add_f16_e32 v48, v20, v13
	v_add_f16_e32 v49, v58, v68
	;; [unrolled: 1-line block ×4, first 2 shown]
	v_sub_f16_e32 v13, v20, v13
	v_sub_f16_e32 v20, v58, v68
	;; [unrolled: 1-line block ×4, first 2 shown]
	v_add_f16_e32 v52, v22, v23
	v_add_f16_e32 v53, v62, v64
	v_sub_f16_e32 v22, v23, v22
	v_sub_f16_e32 v23, v64, v62
	v_add_f16_e32 v57, v50, v48
	v_add_f16_e32 v58, v51, v49
	v_sub_f16_e32 v59, v50, v48
	v_sub_f16_e32 v60, v51, v49
	;; [unrolled: 1-line block ×6, first 2 shown]
	v_add_f16_e32 v61, v22, v21
	v_add_f16_e32 v62, v23, v24
	v_sub_f16_e32 v63, v22, v21
	v_sub_f16_e32 v64, v23, v24
	;; [unrolled: 1-line block ×4, first 2 shown]
	v_add_f16_e32 v52, v52, v57
	v_add_f16_e32 v53, v53, v58
	v_sub_f16_e32 v22, v13, v22
	v_sub_f16_e32 v23, v20, v23
	v_add_f16_e32 v13, v61, v13
	v_add_f16_e32 v20, v62, v20
	v_mul_f16_e32 v48, 0x3a52, v48
	v_mul_f16_e32 v49, 0x3a52, v49
	;; [unrolled: 1-line block ×8, first 2 shown]
	v_add_f16_e32 v65, v52, v19
	v_add_f16_e32 v56, v53, v56
	v_fmamk_f16 v50, v50, 0x2b26, v48
	v_fmamk_f16 v51, v51, 0x2b26, v49
	v_fma_f16 v57, v59, 0x39e0, -v57
	v_fma_f16 v58, v60, 0x39e0, -v58
	;; [unrolled: 1-line block ×4, first 2 shown]
	v_fmamk_f16 v59, v22, 0x3574, v61
	v_fmamk_f16 v60, v23, 0x3574, v62
	v_fma_f16 v61, v21, 0x3b00, -v61
	v_fma_f16 v21, v24, 0x3b00, -v62
	;; [unrolled: 1-line block ×4, first 2 shown]
	v_lshlrev_b32_e32 v19, 16, v56
	v_and_b32_e32 v23, 0xffff, v65
	v_fmac_f16_e32 v65, 0xbcab, v52
	v_fmac_f16_e32 v56, 0xbcab, v53
	;; [unrolled: 1-line block ×6, first 2 shown]
	v_add_f16_e32 v13, v50, v65
	v_add_f16_e32 v63, v51, v56
	v_fmac_f16_e32 v21, 0x370e, v20
	v_fmac_f16_e32 v22, 0x370e, v20
	v_add_f16_e32 v50, v57, v65
	v_add_f16_e32 v48, v48, v65
	;; [unrolled: 1-line block ×5, first 2 shown]
	v_sub_f16_e32 v53, v63, v59
	v_or_b32_e32 v19, v19, v23
	v_add_f16_e32 v23, v22, v48
	v_sub_f16_e32 v52, v49, v62
	v_sub_f16_e32 v24, v50, v21
	v_add_f16_e32 v51, v61, v56
	v_add_f16_e32 v21, v21, v50
	v_sub_f16_e32 v50, v56, v61
	v_sub_f16_e32 v22, v48, v22
	v_add_f16_e32 v49, v62, v49
	v_sub_f16_e32 v13, v13, v60
	v_add_f16_e32 v48, v59, v63
	v_pack_b32_f16 v56, v20, v53
	v_pack_b32_f16 v57, v23, v52
	;; [unrolled: 1-line block ×6, first 2 shown]
	ds_store_2addr_b32 v25, v19, v56 offset1:91
	ds_store_2addr_b32 v55, v57, v58 offset0:54 offset1:145
	ds_store_2addr_b32 v54, v59, v60 offset0:108 offset1:199
	ds_store_b32 v25, v61 offset:2184
	global_wb scope:SCOPE_SE
	s_wait_dscnt 0x0
	s_barrier_signal -1
	s_barrier_wait -1
	global_inv scope:SCOPE_SE
	s_and_saveexec_b32 s6, vcc_lo
	s_cbranch_execz .LBB0_9
; %bb.8:
	s_add_nc_u64 s[4:5], s[20:21], 0x9f4
	s_clause 0xc
	global_load_b32 v57, v25, s[20:21] offset:2548
	global_load_b32 v58, v25, s[4:5] offset:196
	;; [unrolled: 1-line block ×13, first 2 shown]
	ds_load_2addr_b32 v[55:56], v25 offset1:49
	v_add_nc_u32_e32 v76, 0x600, v25
	s_wait_dscnt 0x0
	v_lshrrev_b32_e32 v59, 16, v55
	v_lshrrev_b32_e32 v61, 16, v56
	s_wait_loadcnt 0xc
	v_lshrrev_b32_e32 v60, 16, v57
	s_wait_loadcnt 0xb
	;; [unrolled: 2-line block ×5, first 2 shown]
	v_lshrrev_b32_e32 v79, 16, v67
	v_mul_f16_e32 v63, v59, v60
	v_mul_f16_e32 v60, v55, v60
	;; [unrolled: 1-line block ×4, first 2 shown]
	s_wait_loadcnt 0x3
	v_lshrrev_b32_e32 v85, 16, v72
	v_fma_f16 v55, v55, v57, -v63
	v_fmac_f16_e32 v60, v59, v57
	v_fma_f16 v56, v56, v58, -v64
	v_fmac_f16_e32 v62, v61, v58
	v_lshrrev_b32_e32 v80, 16, v68
	v_lshrrev_b32_e32 v81, 16, v69
	v_pack_b32_f16 v55, v55, v60
	v_lshrrev_b32_e32 v82, 16, v70
	v_pack_b32_f16 v56, v56, v62
	v_lshrrev_b32_e32 v83, 16, v71
	s_wait_loadcnt 0x2
	v_lshrrev_b32_e32 v86, 16, v73
	s_wait_loadcnt 0x1
	v_lshrrev_b32_e32 v87, 16, v74
	s_wait_loadcnt 0x0
	v_lshrrev_b32_e32 v88, 16, v75
	ds_store_2addr_b32 v25, v55, v56 offset1:49
	ds_load_2addr_b32 v[55:56], v25 offset0:98 offset1:147
	ds_load_2addr_b32 v[57:58], v25 offset0:196 offset1:245
	ds_load_2addr_b32 v[59:60], v54 offset0:38 offset1:87
	ds_load_2addr_b32 v[61:62], v54 offset0:136 offset1:185
	ds_load_2addr_b32 v[63:64], v76 offset0:106 offset1:155
	ds_load_b32 v84, v25 offset:2352
	s_wait_dscnt 0x5
	v_lshrrev_b32_e32 v89, 16, v55
	v_lshrrev_b32_e32 v91, 16, v56
	s_wait_dscnt 0x4
	v_lshrrev_b32_e32 v93, 16, v57
	v_lshrrev_b32_e32 v95, 16, v58
	;; [unrolled: 3-line block ×5, first 2 shown]
	v_mul_f16_e32 v90, v55, v85
	v_mul_f16_e32 v92, v56, v77
	s_wait_dscnt 0x0
	v_lshrrev_b32_e32 v109, 16, v84
	v_mul_f16_e32 v85, v89, v85
	v_mul_f16_e32 v77, v91, v77
	;; [unrolled: 1-line block ×19, first 2 shown]
	v_fmac_f16_e32 v90, v89, v72
	v_fmac_f16_e32 v92, v91, v65
	v_mul_f16_e32 v88, v109, v88
	v_fma_f16 v55, v55, v72, -v85
	v_fma_f16 v56, v56, v65, -v77
	v_fmac_f16_e32 v94, v93, v66
	v_fmac_f16_e32 v96, v95, v67
	v_fma_f16 v57, v57, v66, -v78
	v_fma_f16 v58, v58, v67, -v79
	v_fmac_f16_e32 v98, v97, v68
	v_fmac_f16_e32 v100, v99, v69
	;; [unrolled: 4-line block ×4, first 2 shown]
	v_fma_f16 v63, v63, v73, -v86
	v_fma_f16 v64, v64, v74, -v87
	v_fmac_f16_e32 v110, v109, v75
	v_fma_f16 v65, v84, v75, -v88
	v_pack_b32_f16 v55, v55, v90
	v_pack_b32_f16 v56, v56, v92
	;; [unrolled: 1-line block ×11, first 2 shown]
	ds_store_2addr_b32 v25, v55, v56 offset0:98 offset1:147
	ds_store_2addr_b32 v25, v57, v58 offset0:196 offset1:245
	;; [unrolled: 1-line block ×5, first 2 shown]
	ds_store_b32 v25, v65 offset:2352
.LBB0_9:
	s_wait_alu 0xfffe
	s_or_b32 exec_lo, exec_lo, s6
	global_wb scope:SCOPE_SE
	s_wait_dscnt 0x0
	s_barrier_signal -1
	s_barrier_wait -1
	global_inv scope:SCOPE_SE
	s_and_saveexec_b32 s4, vcc_lo
	s_cbranch_execz .LBB0_11
; %bb.10:
	v_add_nc_u32_e32 v9, 0x400, v25
	v_add_nc_u32_e32 v10, 0x600, v25
	ds_load_2addr_b32 v[19:20], v25 offset1:49
	ds_load_2addr_b32 v[23:24], v25 offset0:98 offset1:147
	ds_load_2addr_b32 v[21:22], v25 offset0:196 offset1:245
	;; [unrolled: 1-line block ×5, first 2 shown]
	ds_load_b32 v28, v25 offset:2352
	s_wait_dscnt 0x5
	v_lshrrev_b32_e32 v52, 16, v23
	v_lshrrev_b32_e32 v53, 16, v20
	;; [unrolled: 1-line block ×3, first 2 shown]
	s_wait_dscnt 0x4
	v_lshrrev_b32_e32 v50, 16, v21
	v_lshrrev_b32_e32 v49, 16, v22
	s_wait_dscnt 0x3
	v_lshrrev_b32_e32 v48, 16, v13
	v_lshrrev_b32_e32 v34, 16, v14
	;; [unrolled: 3-line block ×4, first 2 shown]
	s_wait_dscnt 0x0
	v_lshrrev_b32_e32 v29, 16, v28
.LBB0_11:
	s_wait_alu 0xfffe
	s_or_b32 exec_lo, exec_lo, s4
	global_wb scope:SCOPE_SE
	s_barrier_signal -1
	s_barrier_wait -1
	global_inv scope:SCOPE_SE
	s_and_saveexec_b32 s4, vcc_lo
	s_cbranch_execz .LBB0_13
; %bb.12:
	v_add_f16_e32 v72, v29, v53
	v_sub_f16_e32 v57, v20, v28
	v_add_f16_e32 v73, v30, v52
	v_lshrrev_b32_e32 v54, 16, v19
	v_sub_f16_e32 v58, v23, v10
	v_mul_f16_e32 v74, 0xbbc4, v72
	v_add_f16_e32 v75, v31, v51
	v_mul_f16_e32 v77, 0x3b15, v73
	v_sub_f16_e32 v55, v24, v9
	v_add_f16_e32 v76, v32, v50
	v_fmamk_f16 v59, v57, 0x33a8, v74
	v_mul_f16_e32 v79, 0xb9fd, v75
	v_fmamk_f16 v60, v58, 0xb770, v77
	v_sub_f16_e32 v56, v21, v12
	v_add_f16_e32 v78, v33, v49
	v_add_f16_e32 v61, v59, v54
	v_sub_f16_e32 v80, v53, v29
	v_mul_f16_e32 v81, 0x388b, v76
	v_fmamk_f16 v63, v55, 0x394e, v79
	v_sub_f16_e32 v59, v22, v11
	v_add_f16_e32 v60, v60, v61
	v_add_f16_e32 v62, v28, v20
	v_mul_f16_e32 v82, 0xb5ac, v78
	v_mul_f16_e32 v83, 0xb3a8, v80
	v_fmamk_f16 v61, v56, 0xba95, v81
	v_add_f16_e32 v60, v63, v60
	v_sub_f16_e32 v84, v52, v30
	v_add_f16_e32 v63, v10, v23
	v_fmamk_f16 v64, v59, 0x3b7b, v82
	v_fmamk_f16 v65, v62, 0xbbc4, v83
	v_add_f16_e32 v60, v61, v60
	v_mul_f16_e32 v85, 0x3770, v84
	v_sub_f16_e32 v87, v51, v31
	v_add_f16_e32 v86, v34, v48
	v_add_f16_e32 v65, v65, v19
	;; [unrolled: 1-line block ×3, first 2 shown]
	v_fmamk_f16 v66, v63, 0x3b15, v85
	v_add_f16_e32 v64, v9, v24
	v_mul_f16_e32 v88, 0xb94e, v87
	v_sub_f16_e32 v90, v50, v32
	v_mul_f16_e32 v89, 0x2fb7, v86
	v_sub_f16_e32 v61, v13, v14
	v_add_f16_e32 v66, v66, v65
	v_fmamk_f16 v67, v64, 0xb9fd, v88
	v_add_f16_e32 v65, v12, v21
	v_mul_f16_e32 v91, 0x3a95, v90
	v_sub_f16_e32 v92, v49, v33
	v_fmamk_f16 v68, v61, 0xbbf1, v89
	v_add_f16_e32 v67, v67, v66
	v_add_f16_e32 v66, v11, v22
	v_fmamk_f16 v69, v65, 0x388b, v91
	v_mul_f16_e32 v94, 0xbb7b, v92
	v_sub_f16_e32 v95, v48, v34
	v_add_f16_e32 v60, v68, v60
	v_mul_f16_e32 v99, 0xb94e, v80
	v_add_f16_e32 v68, v69, v67
	v_fmamk_f16 v70, v66, 0xb5ac, v94
	v_add_f16_e32 v67, v14, v13
	v_mul_f16_e32 v97, 0x3bf1, v95
	v_mul_f16_e32 v101, 0x3bf1, v84
	;; [unrolled: 1-line block ×3, first 2 shown]
	v_add_f16_e32 v68, v70, v68
	v_mul_f16_e32 v106, 0x33a8, v90
	v_fmamk_f16 v70, v67, 0x2fb7, v97
	v_fmamk_f16 v103, v63, 0x2fb7, v101
	v_mul_f16_e32 v108, 0x3770, v92
	v_mul_f16_e32 v110, 0xbb7b, v95
	;; [unrolled: 1-line block ×3, first 2 shown]
	v_add_f16_e32 v68, v70, v68
	v_fmamk_f16 v70, v62, 0xb9fd, v99
	v_mul_f16_e32 v115, 0x394e, v84
	v_mul_f16_e32 v118, 0x3770, v87
	;; [unrolled: 1-line block ×4, first 2 shown]
	v_add_f16_e32 v70, v70, v19
	v_fmamk_f16 v117, v63, 0xb9fd, v115
	v_mul_f16_e32 v124, 0x3a95, v95
	v_mul_f16_e32 v127, 0xbbf1, v80
	v_mul_f16_e64 v129, 0xb3a8, v84
	v_add_f16_e32 v70, v103, v70
	v_fmamk_f16 v103, v64, 0x388b, v104
	v_mul_f16_e64 v132, 0x3b7b, v87
	v_mul_f16_e64 v134, 0x3770, v90
	v_fma_f16 v131, 0xbbc4, v63, v129
	v_mul_f16_e32 v93, 0xb9fd, v72
	v_add_f16_e32 v70, v103, v70
	v_fmamk_f16 v103, v65, 0xbbc4, v106
	v_mul_f16_e64 v136, 0xba95, v92
	v_mul_f16_e32 v96, 0x2fb7, v73
	v_fmamk_f16 v69, v57, 0x394e, v93
	v_mul_f16_e64 v138, 0xb94e, v95
	v_add_f16_e32 v70, v103, v70
	v_fmamk_f16 v103, v66, 0x3b15, v108
	v_fmamk_f16 v71, v58, 0xbbf1, v96
	v_add_f16_e32 v69, v69, v54
	v_mul_f16_e32 v98, 0x388b, v75
	v_mul_f16_e64 v141, 0xba95, v80
	v_add_f16_e32 v70, v103, v70
	v_fmamk_f16 v103, v67, 0xb5ac, v110
	v_add_f16_e32 v69, v71, v69
	v_fmamk_f16 v71, v55, 0x3a95, v98
	v_mul_f16_e32 v100, 0xbbc4, v76
	v_mul_f16_e64 v143, 0xbb7b, v84
	v_add_f16_e32 v70, v103, v70
	v_fmamk_f16 v103, v62, 0xb5ac, v113
	v_add_f16_e32 v69, v71, v69
	v_fmamk_f16 v71, v56, 0xb3a8, v100
	v_mul_f16_e32 v102, 0x3b15, v78
	v_fma_f16 v145, 0xb5ac, v63, v143
	v_add_f16_e32 v103, v103, v19
	v_mul_f16_e64 v146, 0xb3a8, v87
	v_add_f16_e32 v69, v71, v69
	v_fmamk_f16 v71, v59, 0xb770, v102
	v_mul_f16_e32 v105, 0xb5ac, v86
	v_add_f16_e32 v103, v117, v103
	v_fmamk_f16 v117, v64, 0x3b15, v118
	v_mul_f16_e64 v148, 0x394e, v90
	v_add_f16_e32 v69, v71, v69
	v_fmamk_f16 v71, v61, 0x3b7b, v105
	v_mul_f16_e32 v107, 0xb5ac, v72
	v_add_f16_e32 v103, v117, v103
	v_fmamk_f16 v117, v65, 0x2fb7, v120
	;; [unrolled: 6-line block ×4, first 2 shown]
	v_mul_f16_e32 v80, 0xb770, v80
	v_add_f16_e32 v71, v111, v71
	v_fmamk_f16 v111, v55, 0xb770, v112
	v_mul_f16_e32 v114, 0x2fb7, v76
	v_add_f16_e32 v103, v117, v103
	v_fmamk_f16 v117, v62, 0x2fb7, v127
	;; [unrolled: 3-line block ×3, first 2 shown]
	v_mul_f16_e32 v116, 0xbbc4, v78
	v_add_f16_e32 v117, v117, v19
	v_fma_f16 v152, 0x388b, v63, v84
	v_mul_f16_e32 v87, 0xbbf1, v87
	v_add_f16_e32 v71, v111, v71
	v_fmamk_f16 v111, v59, 0xb3a8, v116
	v_add_f16_e64 v117, v131, v117
	v_fma_f16 v131, 0xb5ac, v64, v132
	v_mul_f16_e32 v119, 0x388b, v86
	v_mul_f16_e32 v90, 0xbb7b, v90
	v_fmac_f16_e32 v74, 0xb3a8, v57
	v_add_f16_e32 v71, v111, v71
	v_add_f16_e64 v117, v131, v117
	v_fma_f16 v131, 0x3b15, v65, v134
	v_fmamk_f16 v111, v61, 0xba95, v119
	v_mul_f16_e32 v121, 0x2fb7, v72
	v_add_f16_e32 v74, v74, v54
	v_fmac_f16_e32 v77, 0x3770, v58
	v_add_f16_e64 v117, v131, v117
	v_fma_f16 v131, 0x388b, v66, v136
	v_mul_f16_e32 v92, 0xb94e, v92
	v_fma_f16 v83, v62, 0xbbc4, -v83
	v_add_f16_e32 v71, v111, v71
	v_fmamk_f16 v111, v57, 0x3bf1, v121
	v_add_f16_e64 v117, v131, v117
	v_fma_f16 v131, 0xb9fd, v67, v138
	v_mul_f16_e32 v123, 0xbbc4, v73
	v_add_f16_e32 v74, v77, v74
	v_fmac_f16_e32 v79, 0xb94e, v55
	v_fmamk_f16 v77, v66, 0xb9fd, v92
	v_add_f16_e64 v117, v131, v117
	v_fma_f16 v131, 0x388b, v62, v141
	v_mul_f16_e32 v95, 0xb3a8, v95
	v_add_f16_e32 v83, v83, v19
	v_fma_f16 v85, v63, 0x3b15, -v85
	v_add_f16_e32 v111, v111, v54
	v_add_f16_e64 v131, v131, v19
	v_fmamk_f16 v125, v58, 0x33a8, v123
	v_mul_f16_e32 v126, 0xb5ac, v75
	v_add_f16_e32 v74, v79, v74
	v_fmac_f16_e32 v81, 0x3a95, v56
	v_add_f16_e64 v131, v145, v131
	v_fma_f16 v145, 0xbbc4, v64, v146
	v_fmamk_f16 v79, v67, 0xbbc4, v95
	v_add_f16_e32 v83, v85, v83
	v_fma_f16 v85, v64, 0xb9fd, -v88
	v_add_f16_e32 v111, v125, v111
	v_add_f16_e64 v131, v145, v131
	v_fma_f16 v145, 0xb9fd, v65, v148
	v_fmamk_f16 v125, v55, 0xbb7b, v126
	v_mul_f16_e64 v128, 0x3b15, v76
	v_add_f16_e32 v74, v81, v74
	v_fma_f16 v81, v65, 0x388b, -v91
	v_add_f16_e64 v131, v145, v131
	v_fma_f16 v145, 0x2fb7, v66, v149
	v_add_f16_e32 v111, v125, v111
	v_fma_f16 v125, 0xb770, v56, v128
	v_mul_f16_e64 v130, 0x388b, v78
	v_mul_f16_e64 v133, 0xb9fd, v86
	v_add_f16_e64 v131, v145, v131
	v_fma_f16 v145, 0x3b15, v67, v150
	v_add_f16_e32 v111, v125, v111
	v_fma_f16 v125, 0x3a95, v59, v130
	v_fmac_f16_e32 v82, 0xbb7b, v59
	v_fmac_f16_e32 v93, 0xb94e, v57
	v_add_f16_e64 v131, v145, v131
	v_fma_f16 v145, 0x3b15, v62, v80
	v_add_f16_e32 v111, v125, v111
	v_fma_f16 v125, 0x394e, v61, v133
	v_mul_f16_e64 v135, 0x388b, v72
	v_add_f16_e32 v74, v82, v74
	v_add_f16_e64 v145, v145, v19
	v_add_f16_e32 v82, v93, v54
	v_fmac_f16_e32 v96, 0x3bf1, v58
	v_add_f16_e32 v53, v53, v54
	v_add_f16_e32 v20, v20, v19
	v_add_f16_e64 v145, v152, v145
	v_fma_f16 v152, 0x2fb7, v64, v87
	v_add_f16_e32 v111, v125, v111
	v_fma_f16 v125, 0x3a95, v57, v135
	v_mul_f16_e64 v137, 0xb5ac, v73
	v_add_f16_e32 v82, v96, v82
	v_add_f16_e64 v145, v152, v145
	v_fma_f16 v152, 0xb5ac, v65, v90
	v_fma_f16 v96, v63, 0xb5ac, -v143
	v_add_f16_e32 v52, v52, v53
	v_add_f16_e32 v20, v23, v20
	;; [unrolled: 1-line block ×3, first 2 shown]
	v_add_f16_e64 v145, v152, v145
	v_fma_f16 v139, 0x3b7b, v58, v137
	v_mul_f16_e64 v140, 0xbbc4, v75
	v_fmac_f16_e32 v89, 0x3bf1, v61
	v_fma_f16 v88, v62, 0xb5ac, -v113
	v_add_f16_e64 v77, v77, v145
	v_add_f16_e32 v51, v51, v52
	v_add_f16_e32 v20, v24, v20
	v_add_f16_e64 v125, v139, v125
	v_fma_f16 v139, 0x33a8, v55, v140
	v_add_f16_e32 v77, v79, v77
	v_add_f16_e32 v79, v85, v83
	v_fma_f16 v83, v62, 0xb9fd, -v99
	v_fma_f16 v85, v63, 0x2fb7, -v101
	v_mul_f16_e64 v142, 0xb9fd, v76
	v_add_f16_e32 v74, v89, v74
	v_add_f16_e32 v79, v81, v79
	v_fma_f16 v81, v66, 0xb5ac, -v94
	v_add_f16_e32 v83, v83, v19
	v_fma_f16 v94, v62, 0x388b, -v141
	;; [unrolled: 2-line block ×5, first 2 shown]
	v_add_f16_e32 v50, v50, v51
	v_add_f16_e32 v20, v21, v20
	;; [unrolled: 1-line block ×4, first 2 shown]
	v_fma_f16 v83, v64, 0x388b, -v104
	v_add_f16_e32 v94, v96, v94
	v_fma_f16 v96, v64, 0xbbc4, -v146
	v_add_f16_e64 v125, v139, v125
	v_fma_f16 v139, 0xb94e, v56, v142
	v_add_f16_e32 v81, v83, v81
	v_fma_f16 v83, v65, 0xbbc4, -v106
	v_add_f16_e32 v23, v96, v94
	v_mul_f16_e64 v144, 0x2fb7, v78
	v_fma_f16 v21, v66, 0x2fb7, -v149
	v_add_f16_e32 v49, v49, v50
	v_add_f16_e32 v81, v83, v81
	v_fma_f16 v83, v66, 0x3b15, -v108
	v_add_f16_e32 v23, v53, v23
	v_add_f16_e32 v20, v22, v20
	v_add_f16_e64 v125, v139, v125
	v_fma_f16 v139, 0xbbf1, v59, v144
	v_add_f16_e32 v81, v83, v81
	v_fma_f16 v83, v67, 0xb5ac, -v110
	v_mul_f16_e64 v147, 0x3b15, v86
	v_fma_f16 v91, v62, 0x2fb7, -v127
	v_add_f16_e32 v21, v21, v23
	v_add_f16_e32 v23, v48, v49
	;; [unrolled: 1-line block ×4, first 2 shown]
	v_fma_f16 v88, v64, 0x3b15, -v118
	v_add_f16_e32 v13, v13, v20
	v_add_f16_e64 v125, v139, v125
	v_fma_f16 v139, 0xb770, v61, v147
	v_mul_f16_e32 v72, 0x3b15, v72
	v_add_f16_e32 v83, v88, v83
	v_fma_f16 v88, v65, 0x2fb7, -v120
	v_add_f16_e32 v91, v91, v19
	v_fma_f16 v93, v63, 0xbbc4, -v129
	v_fma_f16 v20, v62, 0x3b15, -v80
	v_add_f16_e32 v23, v34, v23
	v_add_f16_e32 v83, v88, v83
	v_fma_f16 v88, v66, 0xbbc4, -v122
	v_add_f16_e32 v13, v14, v13
	v_add_f16_e64 v125, v139, v125
	v_fma_f16 v139, 0x3770, v57, v72
	v_mul_f16_e32 v73, 0x388b, v73
	v_fmac_f16_e32 v107, 0xbb7b, v57
	v_fmac_f16_e32 v121, 0xbbf1, v57
	v_add_f16_e32 v83, v88, v83
	v_fma_f16 v88, v67, 0x388b, -v124
	v_add_f16_e32 v91, v93, v91
	v_fma_f16 v93, v64, 0xb5ac, -v132
	v_fmac_f16_e64 v135, 0xba95, v57
	v_fmac_f16_e32 v72, 0xb770, v57
	v_add_f16_e32 v14, v20, v19
	v_fma_f16 v19, v63, 0x388b, -v84
	v_add_f16_e32 v23, v33, v23
	v_add_f16_e32 v11, v11, v13
	v_add_f16_e64 v139, v139, v54
	v_fma_f16 v151, 0x3a95, v58, v73
	v_mul_f16_e32 v75, 0x2fb7, v75
	v_add_f16_e32 v85, v107, v54
	v_fmac_f16_e32 v109, 0x394e, v58
	v_add_f16_e32 v89, v121, v54
	v_fmac_f16_e32 v123, 0xb3a8, v58
	v_add_f16_e32 v83, v88, v83
	v_add_f16_e32 v88, v93, v91
	v_add_f16_e64 v93, v135, v54
	v_fmac_f16_e64 v137, 0xbb7b, v58
	v_add_f16_e32 v48, v72, v54
	v_fmac_f16_e32 v73, 0xba95, v58
	v_add_f16_e32 v13, v19, v14
	v_fma_f16 v14, v64, 0x2fb7, -v87
	v_add_f16_e32 v19, v32, v23
	v_add_f16_e32 v11, v12, v11
	v_add_f16_e64 v139, v151, v139
	v_fma_f16 v151, 0x3bf1, v55, v75
	v_mul_f16_e32 v76, 0xb5ac, v76
	v_fmac_f16_e32 v98, 0xba95, v55
	v_add_f16_e32 v85, v109, v85
	v_fmac_f16_e32 v112, 0x3770, v55
	v_add_f16_e32 v89, v123, v89
	v_fmac_f16_e32 v126, 0x3b7b, v55
	v_add_f16_e64 v93, v137, v93
	v_fmac_f16_e64 v140, 0xb3a8, v55
	v_add_f16_e32 v20, v73, v48
	v_fmac_f16_e32 v75, 0xbbf1, v55
	v_add_f16_e32 v13, v14, v13
	v_add_f16_e32 v14, v31, v19
	;; [unrolled: 1-line block ×3, first 2 shown]
	v_add_f16_e64 v139, v151, v139
	v_fma_f16 v151, 0x3b7b, v56, v76
	v_mul_f16_e32 v78, 0xb9fd, v78
	v_add_f16_e32 v82, v98, v82
	v_fmac_f16_e32 v100, 0x33a8, v56
	v_add_f16_e32 v85, v112, v85
	v_fmac_f16_e32 v114, 0xbbf1, v56
	v_add_f16_e32 v89, v126, v89
	v_fmac_f16_e64 v128, 0x3770, v56
	v_fma_f16 v91, v65, 0x3b15, -v134
	v_add_f16_e64 v93, v140, v93
	v_fmac_f16_e64 v142, 0x394e, v56
	v_add_f16_e32 v12, v75, v20
	v_fmac_f16_e32 v76, 0xbb7b, v56
	v_fma_f16 v11, v65, 0xb5ac, -v90
	v_add_f16_e32 v14, v30, v14
	v_add_f16_e32 v9, v10, v9
	v_add_f16_e64 v139, v151, v139
	v_fma_f16 v151, 0x394e, v59, v78
	v_mul_f16_e32 v86, 0xbbc4, v86
	v_add_f16_e32 v82, v100, v82
	v_fmac_f16_e32 v102, 0x3770, v59
	v_add_f16_e32 v85, v114, v85
	v_fmac_f16_e32 v116, 0x33a8, v59
	v_add_f16_e64 v89, v128, v89
	v_fmac_f16_e64 v130, 0xba95, v59
	v_add_f16_e32 v88, v91, v88
	v_fma_f16 v91, v66, 0x388b, -v136
	v_add_f16_e64 v93, v142, v93
	v_fmac_f16_e64 v144, 0x3bf1, v59
	v_add_f16_e32 v12, v76, v12
	v_fmac_f16_e32 v78, 0xb94e, v59
	v_add_f16_e32 v10, v11, v13
	v_fma_f16 v11, v66, 0xb9fd, -v92
	v_add_f16_e32 v13, v29, v14
	v_add_f16_e32 v9, v28, v9
	v_add_f16_e64 v139, v151, v139
	v_fma_f16 v151, 0x33a8, v61, v86
	v_add_f16_e32 v82, v102, v82
	v_fmac_f16_e32 v105, 0xbb7b, v61
	v_add_f16_e32 v85, v116, v85
	v_fmac_f16_e32 v119, 0x3a95, v61
	v_add_f16_e64 v89, v130, v89
	v_fmac_f16_e64 v133, 0xb94e, v61
	v_add_f16_e32 v88, v91, v88
	v_fma_f16 v91, v67, 0xb9fd, -v138
	v_add_f16_e64 v24, v144, v93
	v_fmac_f16_e64 v147, 0x3770, v61
	v_fma_f16 v22, v67, 0x3b15, -v150
	v_add_f16_e32 v12, v78, v12
	v_fmac_f16_e32 v86, 0xb3a8, v61
	v_add_f16_e32 v10, v11, v10
	v_fma_f16 v11, v67, 0xbbc4, -v95
	v_lshlrev_b32_e32 v13, 16, v13
	v_and_b32_e32 v9, 0xffff, v9
	v_and_b32_e32 v14, 0xffff, v27
	v_add_f16_e64 v139, v151, v139
	v_add_f16_e32 v82, v105, v82
	v_add_f16_e32 v85, v119, v85
	v_add_f16_e64 v89, v133, v89
	v_add_f16_e32 v51, v91, v88
	v_add_f16_e64 v24, v147, v24
	v_add_f16_e32 v19, v22, v21
	v_add_f16_e32 v12, v86, v12
	;; [unrolled: 1-line block ×3, first 2 shown]
	v_or_b32_e32 v9, v13, v9
	v_lshlrev_b32_e32 v11, 2, v14
	v_pack_b32_f16 v13, v131, v125
	v_pack_b32_f16 v14, v77, v139
	v_pack_b32_f16 v20, v103, v71
	v_pack_b32_f16 v21, v117, v111
	v_pack_b32_f16 v22, v68, v60
	v_pack_b32_f16 v23, v70, v69
	v_pack_b32_f16 v27, v81, v82
	v_pack_b32_f16 v28, v79, v74
	v_pack_b32_f16 v29, v51, v89
	v_pack_b32_f16 v30, v83, v85
	v_pack_b32_f16 v10, v10, v12
	v_pack_b32_f16 v12, v19, v24
	ds_store_b32 v11, v9
	ds_store_2addr_b32 v11, v14, v13 offset0:1 offset1:2
	ds_store_2addr_b32 v11, v21, v20 offset0:3 offset1:4
	;; [unrolled: 1-line block ×6, first 2 shown]
.LBB0_13:
	s_wait_alu 0xfffe
	s_or_b32 exec_lo, exec_lo, s4
	global_wb scope:SCOPE_SE
	s_wait_dscnt 0x0
	s_barrier_signal -1
	s_barrier_wait -1
	global_inv scope:SCOPE_SE
	ds_load_2addr_b32 v[11:12], v25 offset1:91
	v_add_nc_u32_e32 v10, 0x200, v25
	v_add_nc_u32_e32 v9, 0x400, v25
	ds_load_b32 v21, v25 offset:2184
	ds_load_2addr_b32 v[13:14], v10 offset0:54 offset1:145
	ds_load_2addr_b32 v[19:20], v9 offset0:108 offset1:199
	global_wb scope:SCOPE_SE
	s_wait_dscnt 0x0
	s_barrier_signal -1
	s_barrier_wait -1
	global_inv scope:SCOPE_SE
	v_lshrrev_b32_e32 v22, 16, v12
	v_mul_f16_e32 v24, v41, v12
	v_lshrrev_b32_e32 v23, 16, v21
	v_lshrrev_b32_e32 v28, 16, v13
	;; [unrolled: 1-line block ×5, first 2 shown]
	v_mul_f16_e32 v32, v41, v22
	v_fma_f16 v22, v0, v22, -v24
	v_mul_f16_e32 v24, v39, v13
	v_mul_f16_e32 v33, v38, v14
	;; [unrolled: 1-line block ×6, first 2 shown]
	v_fmac_f16_e32 v32, v0, v12
	v_mul_f16_e32 v0, v39, v28
	v_fma_f16 v12, v1, v28, -v24
	v_mul_f16_e32 v24, v38, v29
	v_fma_f16 v28, v2, v29, -v33
	v_mul_f16_e32 v29, v36, v30
	v_mul_f16_e32 v33, v37, v31
	v_fmac_f16_e32 v40, v16, v21
	v_fmac_f16_e32 v0, v1, v13
	;; [unrolled: 1-line block ×4, first 2 shown]
	v_fma_f16 v1, v16, v23, -v27
	v_fma_f16 v2, v3, v30, -v34
	v_fmac_f16_e32 v33, v15, v20
	v_fma_f16 v3, v15, v31, -v41
	v_add_f16_e32 v13, v32, v40
	v_add_f16_e32 v14, v22, v1
	v_sub_f16_e32 v1, v22, v1
	v_add_f16_e32 v16, v0, v33
	v_add_f16_e32 v19, v12, v3
	v_sub_f16_e32 v3, v12, v3
	v_add_f16_e32 v12, v24, v29
	v_add_f16_e32 v20, v28, v2
	;; [unrolled: 1-line block ×4, first 2 shown]
	v_sub_f16_e32 v21, v29, v24
	v_sub_f16_e32 v24, v16, v13
	v_sub_f16_e32 v27, v19, v14
	v_sub_f16_e32 v13, v13, v12
	v_sub_f16_e32 v14, v14, v20
	v_sub_f16_e32 v16, v12, v16
	v_sub_f16_e32 v19, v20, v19
	v_add_f16_e32 v20, v20, v23
	v_lshrrev_b32_e32 v23, 16, v11
	v_add_f16_e32 v12, v12, v22
	v_sub_f16_e32 v0, v0, v33
	v_sub_f16_e32 v2, v2, v28
	;; [unrolled: 1-line block ×3, first 2 shown]
	v_add_f16_e32 v23, v20, v23
	v_add_f16_e32 v11, v12, v11
	;; [unrolled: 1-line block ×4, first 2 shown]
	v_sub_f16_e32 v29, v21, v0
	v_sub_f16_e32 v30, v2, v3
	v_lshlrev_b32_e32 v31, 16, v23
	v_and_b32_e32 v32, 0xffff, v11
	v_sub_f16_e32 v0, v0, v15
	v_sub_f16_e32 v3, v3, v1
	v_sub_f16_e32 v21, v15, v21
	v_sub_f16_e32 v2, v1, v2
	v_add_f16_e32 v15, v22, v15
	v_add_f16_e32 v1, v28, v1
	v_or_b32_e32 v22, v31, v32
	v_mul_f16_e32 v13, 0x3a52, v13
	v_mul_f16_e32 v14, 0x3a52, v14
	;; [unrolled: 1-line block ×8, first 2 shown]
	v_fmac_f16_e32 v11, 0xbcab, v12
	v_fmac_f16_e32 v23, 0xbcab, v20
	v_fmamk_f16 v12, v16, 0x2b26, v13
	v_fmamk_f16 v16, v19, 0x2b26, v14
	v_fma_f16 v19, v24, 0x39e0, -v28
	v_fma_f16 v20, v27, 0x39e0, -v31
	;; [unrolled: 1-line block ×4, first 2 shown]
	v_fmamk_f16 v24, v21, 0xb574, v29
	v_fmamk_f16 v27, v2, 0xb574, v30
	v_fma_f16 v0, v0, 0xbb00, -v29
	v_fma_f16 v3, v3, 0xbb00, -v30
	;; [unrolled: 1-line block ×4, first 2 shown]
	v_add_f16_e32 v12, v12, v11
	v_add_f16_e32 v16, v16, v23
	v_fmac_f16_e32 v24, 0xb70e, v15
	v_fmac_f16_e32 v27, 0xb70e, v1
	v_add_f16_e32 v19, v19, v11
	v_add_f16_e32 v20, v20, v23
	;; [unrolled: 1-line block ×4, first 2 shown]
	v_fmac_f16_e32 v0, 0xb70e, v15
	v_fmac_f16_e32 v2, 0xb70e, v1
	;; [unrolled: 1-line block ×4, first 2 shown]
	v_add_f16_e32 v1, v27, v12
	v_sub_f16_e32 v14, v16, v24
	v_add_f16_e32 v15, v2, v11
	v_sub_f16_e32 v23, v13, v21
	v_sub_f16_e32 v28, v19, v3
	v_add_f16_e32 v29, v0, v20
	v_add_f16_e32 v3, v3, v19
	v_sub_f16_e32 v0, v20, v0
	v_sub_f16_e32 v2, v11, v2
	v_add_f16_e32 v11, v21, v13
	v_sub_f16_e32 v12, v12, v27
	v_add_f16_e32 v13, v24, v16
	v_pack_b32_f16 v1, v1, v14
	v_pack_b32_f16 v14, v15, v23
	;; [unrolled: 1-line block ×6, first 2 shown]
	ds_store_2addr_b32 v35, v22, v1 offset1:13
	ds_store_2addr_b32 v35, v14, v15 offset0:26 offset1:39
	ds_store_2addr_b32 v35, v0, v2 offset0:52 offset1:65
	ds_store_b32 v35, v3 offset:312
	global_wb scope:SCOPE_SE
	s_wait_dscnt 0x0
	s_barrier_signal -1
	s_barrier_wait -1
	global_inv scope:SCOPE_SE
	ds_load_2addr_b32 v[0:1], v25 offset1:91
	ds_load_2addr_b32 v[2:3], v10 offset0:54 offset1:145
	ds_load_2addr_b32 v[11:12], v9 offset0:108 offset1:199
	ds_load_b32 v13, v25 offset:2184
	s_wait_dscnt 0x3
	v_lshrrev_b32_e32 v14, 16, v1
	s_wait_dscnt 0x2
	v_lshrrev_b32_e32 v15, 16, v2
	v_lshrrev_b32_e32 v16, 16, v3
	v_mul_f16_e32 v20, v47, v1
	s_wait_dscnt 0x1
	v_lshrrev_b32_e32 v21, 16, v11
	v_mul_f16_e32 v19, v47, v14
	v_lshrrev_b32_e32 v22, 16, v12
	s_wait_dscnt 0x0
	v_lshrrev_b32_e32 v23, 16, v13
	v_mul_f16_e32 v24, v45, v3
	v_mul_f16_e32 v27, v43, v21
	v_fmac_f16_e32 v19, v4, v1
	v_fma_f16 v1, v4, v14, -v20
	v_mul_f16_e32 v4, v46, v15
	v_mul_f16_e32 v14, v46, v2
	;; [unrolled: 1-line block ×3, first 2 shown]
	v_fmac_f16_e32 v27, v7, v11
	v_mul_f16_e32 v11, v43, v11
	v_fmac_f16_e32 v4, v5, v2
	v_fma_f16 v2, v5, v15, -v14
	v_fmac_f16_e32 v20, v6, v3
	v_fma_f16 v3, v6, v16, -v24
	v_mul_f16_e32 v5, v44, v23
	v_mul_f16_e32 v6, v44, v13
	;; [unrolled: 1-line block ×4, first 2 shown]
	v_fma_f16 v7, v7, v21, -v11
	v_fmac_f16_e32 v5, v18, v13
	v_fma_f16 v6, v18, v23, -v6
	v_fmac_f16_e32 v14, v17, v12
	v_fma_f16 v11, v17, v22, -v15
	v_sub_f16_e32 v16, v27, v20
	v_add_f16_e32 v12, v19, v5
	v_add_f16_e32 v13, v1, v6
	v_sub_f16_e32 v1, v1, v6
	v_add_f16_e32 v6, v4, v14
	v_add_f16_e32 v15, v2, v11
	v_sub_f16_e32 v4, v4, v14
	v_sub_f16_e32 v2, v2, v11
	v_add_f16_e32 v11, v20, v27
	v_add_f16_e32 v14, v3, v7
	v_sub_f16_e32 v3, v7, v3
	v_add_f16_e32 v7, v6, v12
	v_add_f16_e32 v17, v15, v13
	v_sub_f16_e32 v5, v19, v5
	v_sub_f16_e32 v19, v15, v13
	;; [unrolled: 1-line block ×4, first 2 shown]
	v_add_f16_e32 v14, v14, v17
	v_lshrrev_b32_e32 v17, 16, v0
	v_add_f16_e32 v7, v11, v7
	v_sub_f16_e32 v18, v6, v12
	v_sub_f16_e32 v12, v12, v11
	;; [unrolled: 1-line block ×3, first 2 shown]
	v_add_f16_e32 v17, v14, v17
	v_add_f16_e32 v0, v7, v0
	;; [unrolled: 1-line block ×4, first 2 shown]
	v_sub_f16_e32 v21, v16, v4
	v_sub_f16_e32 v22, v3, v2
	v_lshlrev_b32_e32 v23, 16, v17
	v_and_b32_e32 v24, 0xffff, v0
	v_sub_f16_e32 v4, v4, v5
	v_sub_f16_e32 v2, v2, v1
	;; [unrolled: 1-line block ×4, first 2 shown]
	v_add_f16_e32 v5, v11, v5
	v_add_f16_e32 v1, v20, v1
	v_or_b32_e32 v11, v23, v24
	v_mul_f16_e32 v12, 0x3a52, v12
	v_mul_f16_e32 v13, 0x3a52, v13
	;; [unrolled: 1-line block ×8, first 2 shown]
	v_fmac_f16_e32 v0, 0xbcab, v7
	v_fmac_f16_e32 v17, 0xbcab, v14
	v_fmamk_f16 v6, v6, 0x2b26, v12
	v_fmamk_f16 v7, v15, 0x2b26, v13
	v_fma_f16 v14, v18, 0x39e0, -v20
	v_fma_f16 v15, v19, 0x39e0, -v23
	;; [unrolled: 1-line block ×4, first 2 shown]
	v_fmamk_f16 v18, v16, 0xb574, v21
	v_fmamk_f16 v19, v3, 0xb574, v22
	v_fma_f16 v4, v4, 0xbb00, -v21
	v_fma_f16 v2, v2, 0xbb00, -v22
	;; [unrolled: 1-line block ×4, first 2 shown]
	v_add_f16_e32 v6, v6, v0
	v_add_f16_e32 v7, v7, v17
	v_fmac_f16_e32 v18, 0xb70e, v5
	v_fmac_f16_e32 v19, 0xb70e, v1
	v_add_f16_e32 v14, v14, v0
	v_add_f16_e32 v15, v15, v17
	;; [unrolled: 1-line block ×4, first 2 shown]
	v_fmac_f16_e32 v4, 0xb70e, v5
	v_fmac_f16_e32 v3, 0xb70e, v1
	;; [unrolled: 1-line block ×4, first 2 shown]
	v_add_f16_e32 v1, v19, v6
	v_sub_f16_e32 v5, v7, v18
	v_add_f16_e32 v13, v3, v0
	v_sub_f16_e32 v17, v12, v16
	v_sub_f16_e32 v20, v14, v2
	v_add_f16_e32 v21, v4, v15
	v_add_f16_e32 v2, v2, v14
	v_sub_f16_e32 v4, v15, v4
	v_sub_f16_e32 v0, v0, v3
	v_add_f16_e32 v3, v16, v12
	v_sub_f16_e32 v6, v6, v19
	v_add_f16_e32 v7, v18, v7
	v_pack_b32_f16 v1, v1, v5
	v_pack_b32_f16 v5, v13, v17
	v_pack_b32_f16 v12, v20, v21
	v_pack_b32_f16 v2, v2, v4
	v_pack_b32_f16 v0, v0, v3
	v_pack_b32_f16 v3, v6, v7
	ds_store_2addr_b32 v25, v11, v1 offset1:91
	ds_store_2addr_b32 v10, v5, v12 offset0:54 offset1:145
	ds_store_2addr_b32 v9, v2, v0 offset0:108 offset1:199
	ds_store_b32 v25, v3 offset:2184
	global_wb scope:SCOPE_SE
	s_wait_dscnt 0x0
	s_barrier_signal -1
	s_barrier_wait -1
	global_inv scope:SCOPE_SE
	s_and_b32 exec_lo, exec_lo, vcc_lo
	s_cbranch_execz .LBB0_15
; %bb.14:
	s_clause 0x6
	global_load_b32 v0, v25, s[20:21]
	global_load_b32 v1, v25, s[20:21] offset:196
	global_load_b32 v2, v25, s[20:21] offset:392
	;; [unrolled: 1-line block ×6, first 2 shown]
	v_mad_co_u64_u32 v[12:13], null, s2, v8, 0
	ds_load_b32 v27, v25
	ds_load_2addr_b32 v[14:15], v25 offset0:49 offset1:98
	v_mad_co_u64_u32 v[16:17], null, s0, v26, 0
	ds_load_2addr_b32 v[18:19], v25 offset0:147 offset1:196
	ds_load_2addr_b32 v[20:21], v10 offset0:117 offset1:166
	s_mov_b32 s24, 0xf5262dd1
	v_mov_b32_e32 v10, v13
	s_mov_b32 s25, 0x3f59b876
	s_mul_u64 s[22:23], s[0:1], 0xc4
	s_clause 0x3
	global_load_b32 v7, v25, s[20:21] offset:1372
	global_load_b32 v5, v25, s[20:21] offset:1568
	;; [unrolled: 1-line block ×4, first 2 shown]
	v_mov_b32_e32 v13, v17
	s_wait_dscnt 0x1
	v_lshrrev_b32_e32 v31, 16, v18
	v_lshrrev_b32_e32 v32, 16, v19
	s_wait_dscnt 0x0
	v_lshrrev_b32_e32 v33, 16, v20
	v_lshrrev_b32_e32 v43, 16, v21
	s_wait_loadcnt 0x7
	v_lshrrev_b32_e32 v28, 16, v3
	s_wait_loadcnt 0x6
	v_mad_co_u64_u32 v[22:23], null, s3, v8, v[10:11]
	v_mad_co_u64_u32 v[23:24], null, s1, v26, v[13:14]
	v_lshrrev_b32_e32 v8, 16, v27
	v_lshrrev_b32_e32 v10, 16, v14
	;; [unrolled: 1-line block ×4, first 2 shown]
	v_mov_b32_e32 v13, v22
	v_lshrrev_b32_e32 v22, 16, v0
	v_mov_b32_e32 v17, v23
	v_lshrrev_b32_e32 v23, 16, v1
	v_mul_f16_e32 v37, v24, v26
	v_mul_f16_e32 v26, v15, v26
	;; [unrolled: 1-line block ×6, first 2 shown]
	v_fmac_f16_e32 v37, v15, v2
	v_fmac_f16_e32 v35, v27, v0
	v_fma_f16 v0, v0, v8, -v22
	v_fmac_f16_e32 v36, v14, v1
	v_fma_f16 v10, v1, v10, -v23
	v_lshrrev_b32_e32 v29, 16, v11
	v_cvt_f32_f16_e32 v22, v35
	v_cvt_f32_f16_e32 v14, v0
	;; [unrolled: 1-line block ×4, first 2 shown]
	v_mul_f16_e32 v8, v31, v28
	v_cvt_f64_f32_e32 v[0:1], v22
	v_cvt_f64_f32_e32 v[22:23], v14
	;; [unrolled: 1-line block ×3, first 2 shown]
	v_mul_f16_e32 v38, v18, v28
	v_cvt_f32_f16_e32 v28, v37
	v_fma_f16 v2, v2, v24, -v26
	v_cvt_f64_f32_e32 v[26:27], v10
	v_mul_f16_e32 v35, v32, v29
	v_mul_f16_e32 v36, v19, v29
	v_fmac_f16_e32 v8, v18, v3
	v_cvt_f64_f32_e32 v[28:29], v28
	v_cvt_f32_f16_e32 v2, v2
	s_wait_loadcnt 0x5
	v_lshrrev_b32_e32 v34, 16, v30
	v_fma_f16 v18, v3, v31, -v38
	v_cvt_f32_f16_e32 v8, v8
	v_fmac_f16_e32 v35, v19, v11
	v_cvt_f64_f32_e32 v[2:3], v2
	v_mul_f16_e32 v39, v33, v34
	v_mul_f16_e32 v34, v20, v34
	v_fma_f16 v31, v11, v32, -v36
	v_cvt_f64_f32_e32 v[10:11], v8
	v_cvt_f32_f16_e32 v8, v18
	v_fmac_f16_e32 v39, v20, v30
	v_fma_f16 v20, v30, v33, -v34
	v_cvt_f32_f16_e32 v30, v35
	v_lshlrev_b64_e32 v[12:13], 2, v[12:13]
	v_cvt_f64_f32_e32 v[18:19], v8
	v_cvt_f32_f16_e32 v8, v31
	v_cvt_f32_f16_e32 v20, v20
	v_cvt_f64_f32_e32 v[30:31], v30
	v_cvt_f32_f16_e32 v34, v39
	s_wait_loadcnt 0x4
	v_lshrrev_b32_e32 v44, 16, v42
	v_cvt_f64_f32_e32 v[32:33], v8
	v_add_co_u32 v8, vcc_lo, s8, v12
	v_cvt_f64_f32_e32 v[36:37], v20
	v_add_co_ci_u32_e32 v20, vcc_lo, s9, v13, vcc_lo
	v_mul_f64_e32 v[40:41], s[24:25], v[0:1]
	v_lshlrev_b64_e32 v[0:1], 2, v[16:17]
	v_mul_f64_e32 v[16:17], s[24:25], v[22:23]
	v_mul_f64_e32 v[12:13], s[24:25], v[14:15]
	v_cvt_f64_f32_e32 v[34:35], v34
	v_mul_f16_e32 v24, v43, v44
	v_mul_f64_e32 v[22:23], s[24:25], v[26:27]
	v_add_co_u32 v14, vcc_lo, v8, v0
	s_wait_alu 0xfffd
	v_add_co_ci_u32_e32 v15, vcc_lo, v20, v1, vcc_lo
	v_fmac_f16_e32 v24, v21, v42
	v_mul_f16_e32 v0, v21, v44
	v_mul_f64_e32 v[20:21], s[24:25], v[28:29]
	v_add_co_u32 v26, vcc_lo, v14, s22
	v_mul_f64_e32 v[28:29], s[24:25], v[2:3]
	s_wait_alu 0xfffd
	v_add_co_ci_u32_e32 v27, vcc_lo, s23, v15, vcc_lo
	v_fma_f16 v0, v42, v43, -v0
	v_mul_f64_e32 v[10:11], s[24:25], v[10:11]
	v_add_co_u32 v42, vcc_lo, v26, s22
	s_wait_alu 0xfffd
	v_add_co_ci_u32_e32 v43, vcc_lo, s23, v27, vcc_lo
	v_cvt_f32_f16_e32 v24, v24
	v_mul_f64_e32 v[18:19], s[24:25], v[18:19]
	v_add_co_u32 v44, vcc_lo, v42, s22
	v_mul_f64_e32 v[30:31], s[24:25], v[30:31]
	s_wait_alu 0xfffd
	v_add_co_ci_u32_e32 v45, vcc_lo, s23, v43, vcc_lo
	v_mul_f64_e32 v[32:33], s[24:25], v[32:33]
	v_cvt_f64_f32_e32 v[38:39], v24
	v_cvt_f32_f16_e32 v0, v0
	v_mul_f64_e32 v[2:3], s[24:25], v[36:37]
	v_and_or_b32 v8, 0x1ff, v41, v40
	v_lshrrev_b32_e32 v24, 8, v41
	v_and_or_b32 v16, 0x1ff, v17, v16
	v_and_or_b32 v12, 0x1ff, v13, v12
	v_mul_f64_e32 v[34:35], s[24:25], v[34:35]
	v_cmp_ne_u32_e32 vcc_lo, 0, v8
	v_and_or_b32 v22, 0x1ff, v23, v22
	v_cvt_f64_f32_e32 v[46:47], v0
	v_bfe_u32 v36, v41, 20, 11
	v_lshrrev_b32_e32 v37, 16, v41
	s_wait_alu 0xfffd
	v_cndmask_b32_e64 v8, 0, 1, vcc_lo
	v_cmp_ne_u32_e32 vcc_lo, 0, v16
	v_lshrrev_b32_e32 v40, 8, v13
	v_and_or_b32 v20, 0x1ff, v21, v20
	v_bfe_u32 v41, v13, 20, 11
	v_and_or_b32 v8, 0xffe, v24, v8
	s_wait_alu 0xfffd
	v_cndmask_b32_e64 v16, 0, 1, vcc_lo
	v_cmp_ne_u32_e32 vcc_lo, 0, v12
	v_and_or_b32 v28, 0x1ff, v29, v28
	v_bfe_u32 v49, v23, 20, 11
	v_and_or_b32 v10, 0x1ff, v11, v10
	v_sub_nc_u32_e32 v64, 0x3f1, v36
	s_wait_alu 0xfffd
	v_cndmask_b32_e64 v12, 0, 1, vcc_lo
	v_cmp_ne_u32_e32 vcc_lo, 0, v22
	v_add_nc_u32_e32 v36, 0xfffffc10, v36
	v_lshrrev_b32_e32 v48, 8, v23
	v_and_or_b32 v18, 0x1ff, v19, v18
	v_bfe_u32 v51, v21, 20, 11
	s_wait_alu 0xfffd
	v_cndmask_b32_e64 v22, 0, 1, vcc_lo
	v_cmp_ne_u32_e32 vcc_lo, 0, v20
	v_and_or_b32 v30, 0x1ff, v31, v30
	v_bfe_u32 v53, v29, 20, 11
	v_and_or_b32 v32, 0x1ff, v33, v32
	v_mul_f64_e32 v[0:1], s[24:25], v[38:39]
	s_wait_alu 0xfffd
	v_cndmask_b32_e64 v20, 0, 1, vcc_lo
	v_cmp_ne_u32_e32 vcc_lo, 0, v28
	v_lshrrev_b32_e32 v38, 8, v17
	v_bfe_u32 v39, v17, 20, 11
	v_sub_nc_u32_e32 v66, 0x3f1, v41
	v_sub_nc_u32_e32 v67, 0x3f1, v49
	s_wait_alu 0xfffd
	v_cndmask_b32_e64 v28, 0, 1, vcc_lo
	v_cmp_ne_u32_e32 vcc_lo, 0, v10
	v_and_or_b32 v34, 0x1ff, v35, v34
	v_sub_nc_u32_e32 v65, 0x3f1, v39
	v_and_or_b32 v16, 0xffe, v38, v16
	v_med3_i32 v24, v64, 0, 13
	s_wait_alu 0xfffd
	v_cndmask_b32_e64 v10, 0, 1, vcc_lo
	v_cmp_ne_u32_e32 vcc_lo, 0, v18
	v_med3_i32 v38, v65, 0, 13
	v_and_or_b32 v12, 0xffe, v40, v12
	v_or_b32_e32 v64, 0x1000, v8
	v_lshl_or_b32 v65, v36, 12, v8
	s_wait_alu 0xfffd
	v_cndmask_b32_e64 v18, 0, 1, vcc_lo
	v_cmp_ne_u32_e32 vcc_lo, 0, v30
	v_add_nc_u32_e32 v39, 0xfffffc10, v39
	v_lshrrev_b32_e32 v50, 8, v21
	v_lshrrev_b32_e32 v52, 8, v29
	v_bfe_u32 v55, v11, 20, 11
	s_wait_alu 0xfffd
	v_cndmask_b32_e64 v30, 0, 1, vcc_lo
	v_cmp_ne_u32_e32 vcc_lo, 0, v32
	v_bfe_u32 v57, v19, 20, 11
	v_sub_nc_u32_e32 v68, 0x3f1, v51
	v_sub_nc_u32_e32 v69, 0x3f1, v53
	v_med3_i32 v40, v66, 0, 13
	s_wait_alu 0xfffd
	v_cndmask_b32_e64 v32, 0, 1, vcc_lo
	v_cmp_ne_u32_e32 vcc_lo, 0, v34
	v_and_or_b32 v22, 0xffe, v48, v22
	v_med3_i32 v48, v67, 0, 13
	v_or_b32_e32 v66, 0x1000, v16
	v_lshl_or_b32 v67, v39, 12, v16
	s_wait_alu 0xfffd
	v_cndmask_b32_e64 v34, 0, 1, vcc_lo
	v_cmp_ne_u32_e32 vcc_lo, 0, v8
	v_add_nc_u32_e32 v41, 0xfffffc10, v41
	v_lshrrev_b32_e32 v54, 8, v11
	v_lshrrev_b32_e32 v56, 8, v19
	v_bfe_u32 v59, v31, 20, 11
	s_wait_alu 0xfffd
	v_cndmask_b32_e64 v8, 0, 1, vcc_lo
	v_cmp_ne_u32_e32 vcc_lo, 0, v16
	v_bfe_u32 v61, v33, 20, 11
	v_sub_nc_u32_e32 v70, 0x3f1, v55
	v_sub_nc_u32_e32 v71, 0x3f1, v57
	v_and_or_b32 v20, 0xffe, v50, v20
	s_wait_alu 0xfffd
	v_cndmask_b32_e64 v16, 0, 1, vcc_lo
	v_cmp_ne_u32_e32 vcc_lo, 0, v12
	v_med3_i32 v50, v68, 0, 13
	v_and_or_b32 v28, 0xffe, v52, v28
	v_med3_i32 v52, v69, 0, 13
	v_or_b32_e32 v68, 0x1000, v12
	v_lshl_or_b32 v69, v41, 12, v12
	v_add_nc_u32_e32 v49, 0xfffffc10, v49
	s_wait_alu 0xfffd
	v_cndmask_b32_e64 v12, 0, 1, vcc_lo
	v_cmp_ne_u32_e32 vcc_lo, 0, v22
	v_lshrrev_b32_e32 v58, 8, v31
	v_lshrrev_b32_e32 v60, 8, v33
	v_bfe_u32 v63, v35, 20, 11
	v_sub_nc_u32_e32 v72, 0x3f1, v59
	v_sub_nc_u32_e32 v73, 0x3f1, v61
	v_and_or_b32 v10, 0xffe, v54, v10
	v_med3_i32 v54, v70, 0, 13
	v_and_or_b32 v18, 0xffe, v56, v18
	v_med3_i32 v56, v71, 0, 13
	v_or_b32_e32 v70, 0x1000, v22
	v_lshl_or_b32 v71, v49, 12, v22
	v_add_nc_u32_e32 v51, 0xfffffc10, v51
	s_wait_alu 0xfffd
	v_cndmask_b32_e64 v22, 0, 1, vcc_lo
	v_cmp_ne_u32_e32 vcc_lo, 0, v20
	v_lshrrev_b32_e32 v62, 8, v35
	v_sub_nc_u32_e32 v74, 0x3f1, v63
	v_and_or_b32 v30, 0xffe, v58, v30
	v_med3_i32 v58, v72, 0, 13
	v_and_or_b32 v32, 0xffe, v60, v32
	v_med3_i32 v60, v73, 0, 13
	v_or_b32_e32 v72, 0x1000, v20
	v_lshl_or_b32 v73, v51, 12, v20
	v_add_nc_u32_e32 v53, 0xfffffc10, v53
	s_wait_alu 0xfffd
	v_cndmask_b32_e64 v20, 0, 1, vcc_lo
	v_cmp_ne_u32_e32 vcc_lo, 0, v28
	v_and_or_b32 v34, 0xffe, v62, v34
	v_med3_i32 v62, v74, 0, 13
	v_or_b32_e32 v74, 0x1000, v28
	v_lshl_or_b32 v75, v53, 12, v28
	v_add_nc_u32_e32 v55, 0xfffffc10, v55
	s_wait_alu 0xfffd
	v_cndmask_b32_e64 v28, 0, 1, vcc_lo
	v_cmp_ne_u32_e32 vcc_lo, 0, v10
	v_or_b32_e32 v76, 0x1000, v10
	v_or_b32_e32 v78, 0x1000, v18
	v_lshl_or_b32 v77, v55, 12, v10
	v_add_nc_u32_e32 v57, 0xfffffc10, v57
	s_wait_alu 0xfffd
	v_cndmask_b32_e64 v10, 0, 1, vcc_lo
	v_cmp_ne_u32_e32 vcc_lo, 0, v18
	v_lshrrev_b32_e32 v85, v24, v64
	v_or_b32_e32 v80, 0x1000, v30
	v_lshl_or_b32 v79, v57, 12, v18
	v_add_nc_u32_e32 v59, 0xfffffc10, v59
	s_wait_alu 0xfffd
	v_cndmask_b32_e64 v18, 0, 1, vcc_lo
	v_cmp_ne_u32_e32 vcc_lo, 0, v30
	v_lshrrev_b32_e32 v86, v38, v66
	v_lshlrev_b32_e32 v24, v24, v85
	v_lshl_or_b32 v81, v59, 12, v30
	v_add_nc_u32_e32 v61, 0xfffffc10, v61
	s_wait_alu 0xfffd
	v_cndmask_b32_e64 v30, 0, 1, vcc_lo
	v_cmp_ne_u32_e32 vcc_lo, 0, v32
	v_or_b32_e32 v82, 0x1000, v32
	v_lshrrev_b32_e32 v87, v40, v68
	v_lshl_or_b32 v83, v61, 12, v32
	v_lshlrev_b32_e32 v38, v38, v86
	s_wait_alu 0xfffd
	v_cndmask_b32_e64 v32, 0, 1, vcc_lo
	v_cmp_ne_u32_e32 vcc_lo, v24, v64
	v_lshrrev_b32_e32 v88, v48, v70
	v_lshlrev_b32_e32 v40, v40, v87
	v_lshrrev_b32_e32 v89, v50, v72
	v_lshrrev_b32_e32 v90, v52, v74
	s_wait_alu 0xfffd
	v_cndmask_b32_e64 v24, 0, 1, vcc_lo
	v_cmp_ne_u32_e32 vcc_lo, v38, v66
	v_lshlrev_b32_e32 v48, v48, v88
	v_lshlrev_b32_e32 v50, v50, v89
	v_lshrrev_b32_e32 v91, v54, v76
	v_lshlrev_b32_e32 v52, v52, v90
	s_wait_alu 0xfffd
	v_cndmask_b32_e64 v38, 0, 1, vcc_lo
	v_cmp_ne_u32_e32 vcc_lo, v40, v68
	v_lshrrev_b32_e32 v92, v56, v78
	v_lshlrev_b32_e32 v54, v54, v91
	v_lshrrev_b32_e32 v93, v58, v80
	v_or_b32_e32 v84, 0x1000, v34
	s_wait_alu 0xfffd
	v_cndmask_b32_e64 v40, 0, 1, vcc_lo
	v_cmp_ne_u32_e32 vcc_lo, v48, v70
	v_lshlrev_b32_e32 v56, v56, v92
	v_lshrrev_b32_e32 v94, v60, v82
	v_lshlrev_b32_e32 v58, v58, v93
	v_lshrrev_b32_e32 v95, v62, v84
	s_wait_alu 0xfffd
	v_cndmask_b32_e64 v48, 0, 1, vcc_lo
	v_cmp_ne_u32_e32 vcc_lo, v50, v72
	v_lshlrev_b32_e32 v60, v60, v94
	v_or_b32_e32 v24, v85, v24
	v_lshlrev_b32_e32 v62, v62, v95
	v_or_b32_e32 v38, v86, v38
	s_wait_alu 0xfffd
	v_cndmask_b32_e64 v50, 0, 1, vcc_lo
	v_cmp_ne_u32_e32 vcc_lo, v52, v74
	v_or_b32_e32 v40, v87, v40
	v_or_b32_e32 v48, v88, v48
	v_lshl_or_b32 v8, v8, 9, 0x7c00
	v_or_b32_e32 v50, v89, v50
	s_wait_alu 0xfffd
	v_cndmask_b32_e64 v52, 0, 1, vcc_lo
	v_cmp_ne_u32_e32 vcc_lo, v54, v76
	v_lshl_or_b32 v16, v16, 9, 0x7c00
	v_lshl_or_b32 v12, v12, 9, 0x7c00
	;; [unrolled: 1-line block ×3, first 2 shown]
	v_or_b32_e32 v52, v90, v52
	s_wait_alu 0xfffd
	v_cndmask_b32_e64 v54, 0, 1, vcc_lo
	v_cmp_ne_u32_e32 vcc_lo, v56, v78
	v_lshl_or_b32 v20, v20, 9, 0x7c00
	v_lshl_or_b32 v28, v28, 9, 0x7c00
	v_lshrrev_b32_e32 v17, 16, v17
	v_or_b32_e32 v54, v91, v54
	s_wait_alu 0xfffd
	v_cndmask_b32_e64 v56, 0, 1, vcc_lo
	v_cmp_ne_u32_e32 vcc_lo, v58, v80
	v_lshrrev_b32_e32 v21, 16, v21
	v_lshl_or_b32 v10, v10, 9, 0x7c00
	v_lshrrev_b32_e32 v13, 16, v13
	v_or_b32_e32 v56, v92, v56
	s_wait_alu 0xfffd
	v_cndmask_b32_e64 v58, 0, 1, vcc_lo
	v_cmp_ne_u32_e32 vcc_lo, v60, v82
	v_lshl_or_b32 v18, v18, 9, 0x7c00
	v_lshrrev_b32_e32 v23, 16, v23
	v_lshrrev_b32_e32 v11, 16, v11
	v_or_b32_e32 v58, v93, v58
	s_wait_alu 0xfffd
	v_cndmask_b32_e64 v60, 0, 1, vcc_lo
	v_cmp_ne_u32_e32 vcc_lo, v62, v84
	v_lshrrev_b32_e32 v29, 16, v29
	v_lshl_or_b32 v30, v30, 9, 0x7c00
	v_lshrrev_b32_e32 v19, 16, v19
	v_or_b32_e32 v60, v94, v60
	s_wait_alu 0xfffd
	v_cndmask_b32_e64 v62, 0, 1, vcc_lo
	v_cmp_gt_i32_e32 vcc_lo, 1, v36
	v_and_or_b32 v2, 0x1ff, v3, v2
	v_lshl_or_b32 v32, v32, 9, 0x7c00
	v_lshrrev_b32_e32 v31, 16, v31
	v_lshrrev_b32_e32 v33, 16, v33
	s_wait_alu 0xfffd
	v_cndmask_b32_e32 v24, v65, v24, vcc_lo
	v_cmp_gt_i32_e32 vcc_lo, 1, v39
	v_or_b32_e32 v62, v95, v62
	v_and_or_b32 v0, 0x1ff, v1, v0
	s_delay_alu instid0(VALU_DEP_4)
	v_and_b32_e32 v64, 7, v24
	s_wait_alu 0xfffd
	v_cndmask_b32_e32 v38, v67, v38, vcc_lo
	v_cmp_gt_i32_e32 vcc_lo, 1, v41
	v_lshrrev_b32_e32 v24, 2, v24
	v_cmp_eq_u32_e64 s0, 3, v64
	s_wait_alu 0xfffd
	v_cndmask_b32_e32 v40, v69, v40, vcc_lo
	v_cmp_gt_i32_e32 vcc_lo, 1, v49
	s_delay_alu instid0(VALU_DEP_2)
	v_and_b32_e32 v66, 7, v40
	s_wait_alu 0xfffd
	v_cndmask_b32_e32 v48, v71, v48, vcc_lo
	v_cmp_gt_i32_e32 vcc_lo, 1, v51
	v_lshrrev_b32_e32 v40, 2, v40
	v_cmp_lt_i32_e64 s3, 5, v66
	v_cmp_eq_u32_e64 s4, 3, v66
	s_wait_alu 0xfffd
	v_cndmask_b32_e32 v50, v73, v50, vcc_lo
	v_cmp_gt_i32_e32 vcc_lo, 1, v53
	s_delay_alu instid0(VALU_DEP_2)
	v_and_b32_e32 v68, 7, v50
	s_wait_alu 0xfffd
	v_cndmask_b32_e32 v52, v75, v52, vcc_lo
	v_cmp_gt_i32_e32 vcc_lo, 1, v55
	v_lshrrev_b32_e32 v50, 2, v50
	v_cmp_lt_i32_e64 s7, 5, v68
	;; [unrolled: 11-line block ×3, first 2 shown]
	v_cmp_eq_u32_e64 s12, 3, v70
	s_wait_alu 0xfffd
	v_cndmask_b32_e32 v58, v81, v58, vcc_lo
	v_cmp_gt_i32_e32 vcc_lo, 1, v61
	v_add_nc_u32_e32 v63, 0xfffffc10, v63
	s_delay_alu instid0(VALU_DEP_3)
	v_and_b32_e32 v72, 7, v58
	s_wait_alu 0xfffd
	v_cndmask_b32_e32 v60, v83, v60, vcc_lo
	v_cmp_lt_i32_e32 vcc_lo, 5, v64
	v_lshrrev_b32_e32 v58, 2, v58
	v_cmp_lt_i32_e64 s15, 5, v72
	v_cmp_eq_u32_e64 s16, 3, v72
	s_or_b32 vcc_lo, s0, vcc_lo
	s_wait_alu 0xfffe
	v_add_co_ci_u32_e32 v24, vcc_lo, 0, v24, vcc_lo
	v_and_b32_e32 v65, 7, v38
	v_lshrrev_b32_e32 v38, 2, v38
	s_delay_alu instid0(VALU_DEP_2) | instskip(SKIP_1) | instid1(VALU_DEP_1)
	v_cmp_lt_i32_e64 s1, 5, v65
	v_cmp_eq_u32_e64 s2, 3, v65
	s_or_b32 vcc_lo, s2, s1
	s_wait_alu 0xfffe
	v_add_co_ci_u32_e32 v38, vcc_lo, 0, v38, vcc_lo
	v_and_b32_e32 v67, 7, v48
	v_lshrrev_b32_e32 v48, 2, v48
	s_or_b32 vcc_lo, s4, s3
	s_wait_alu 0xfffe
	v_add_co_ci_u32_e32 v40, vcc_lo, 0, v40, vcc_lo
	v_cmp_lt_i32_e64 s5, 5, v67
	v_cmp_eq_u32_e64 s6, 3, v67
	s_delay_alu instid0(VALU_DEP_1)
	s_or_b32 vcc_lo, s6, s5
	s_wait_alu 0xfffe
	v_add_co_ci_u32_e32 v48, vcc_lo, 0, v48, vcc_lo
	s_or_b32 vcc_lo, s8, s7
	s_wait_alu 0xfffe
	v_add_co_ci_u32_e32 v50, vcc_lo, 0, v50, vcc_lo
	v_and_b32_e32 v69, 7, v52
	v_lshrrev_b32_e32 v52, 2, v52
	s_delay_alu instid0(VALU_DEP_2) | instskip(SKIP_1) | instid1(VALU_DEP_1)
	v_cmp_lt_i32_e64 s9, 5, v69
	v_cmp_eq_u32_e64 s10, 3, v69
	s_or_b32 vcc_lo, s10, s9
	s_wait_alu 0xfffe
	v_add_co_ci_u32_e32 v52, vcc_lo, 0, v52, vcc_lo
	s_or_b32 vcc_lo, s12, s11
	s_wait_alu 0xfffe
	v_add_co_ci_u32_e32 v54, vcc_lo, 0, v54, vcc_lo
	v_and_b32_e32 v71, 7, v56
	v_lshrrev_b32_e32 v56, 2, v56
	s_delay_alu instid0(VALU_DEP_2) | instskip(SKIP_1) | instid1(VALU_DEP_1)
	v_cmp_lt_i32_e64 s13, 5, v71
	v_cmp_eq_u32_e64 s14, 3, v71
	;; [unrolled: 11-line block ×3, first 2 shown]
	s_or_b32 vcc_lo, s18, s17
	s_wait_alu 0xfffe
	v_add_co_ci_u32_e32 v60, vcc_lo, 0, v60, vcc_lo
	v_cmp_gt_i32_e32 vcc_lo, 31, v36
	s_wait_alu 0xfffd
	v_cndmask_b32_e32 v24, 0x7c00, v24, vcc_lo
	v_cmp_gt_i32_e32 vcc_lo, 31, v39
	s_wait_alu 0xfffd
	v_cndmask_b32_e32 v38, 0x7c00, v38, vcc_lo
	v_cmp_gt_i32_e32 vcc_lo, 31, v41
	s_wait_alu 0xfffd
	v_cndmask_b32_e32 v40, 0x7c00, v40, vcc_lo
	v_cmp_gt_i32_e32 vcc_lo, 31, v49
	s_wait_alu 0xfffd
	v_cndmask_b32_e32 v48, 0x7c00, v48, vcc_lo
	v_cmp_gt_i32_e32 vcc_lo, 31, v51
	s_wait_alu 0xfffd
	v_cndmask_b32_e32 v50, 0x7c00, v50, vcc_lo
	v_cmp_gt_i32_e32 vcc_lo, 31, v53
	s_wait_alu 0xfffd
	v_cndmask_b32_e32 v52, 0x7c00, v52, vcc_lo
	v_cmp_gt_i32_e32 vcc_lo, 31, v55
	s_wait_alu 0xfffd
	v_cndmask_b32_e32 v54, 0x7c00, v54, vcc_lo
	v_cmp_gt_i32_e32 vcc_lo, 31, v57
	s_wait_alu 0xfffd
	v_cndmask_b32_e32 v56, 0x7c00, v56, vcc_lo
	v_cmp_gt_i32_e32 vcc_lo, 31, v59
	s_wait_alu 0xfffd
	v_cndmask_b32_e32 v58, 0x7c00, v58, vcc_lo
	v_cmp_gt_i32_e32 vcc_lo, 31, v61
	s_wait_alu 0xfffd
	v_cndmask_b32_e32 v60, 0x7c00, v60, vcc_lo
	v_cmp_eq_u32_e32 vcc_lo, 0x40f, v36
	s_wait_alu 0xfffd
	v_cndmask_b32_e32 v8, v24, v8, vcc_lo
	v_cmp_eq_u32_e32 vcc_lo, 0x40f, v39
	s_wait_alu 0xfffd
	v_cndmask_b32_e32 v16, v38, v16, vcc_lo
	v_cmp_eq_u32_e32 vcc_lo, 0x40f, v41
	s_delay_alu instid0(VALU_DEP_2) | instskip(SKIP_3) | instid1(VALU_DEP_2)
	v_and_or_b32 v16, 0x8000, v17, v16
	s_wait_alu 0xfffd
	v_cndmask_b32_e32 v12, v40, v12, vcc_lo
	v_cmp_eq_u32_e32 vcc_lo, 0x40f, v49
	v_and_or_b32 v12, 0x8000, v13, v12
	s_wait_alu 0xfffd
	v_cndmask_b32_e32 v22, v48, v22, vcc_lo
	v_cmp_eq_u32_e32 vcc_lo, 0x40f, v51
	s_delay_alu instid0(VALU_DEP_3) | instskip(NEXT) | instid1(VALU_DEP_3)
	v_and_b32_e32 v12, 0xffff, v12
	v_and_or_b32 v13, 0x8000, v23, v22
	s_wait_alu 0xfffd
	v_cndmask_b32_e32 v20, v50, v20, vcc_lo
	v_cmp_eq_u32_e32 vcc_lo, 0x40f, v53
	s_wait_loadcnt 0x3
	v_lshrrev_b32_e32 v22, 16, v7
	v_lshl_or_b32 v12, v13, 16, v12
	v_and_or_b32 v17, 0x8000, v21, v20
	s_wait_alu 0xfffd
	v_cndmask_b32_e32 v24, v52, v28, vcc_lo
	v_cmp_eq_u32_e32 vcc_lo, 0x40f, v55
	s_delay_alu instid0(VALU_DEP_3)
	v_and_b32_e32 v17, 0xffff, v17
	v_and_or_b32 v8, 0x8000, v37, v8
	s_wait_alu 0xfffd
	v_cndmask_b32_e32 v10, v54, v10, vcc_lo
	v_cmp_eq_u32_e32 vcc_lo, 0x40f, v57
	v_and_or_b32 v20, 0x8000, v29, v24
	v_and_b32_e32 v8, 0xffff, v8
	s_delay_alu instid0(VALU_DEP_4)
	v_and_or_b32 v10, 0x8000, v11, v10
	s_wait_alu 0xfffd
	v_cndmask_b32_e32 v18, v56, v18, vcc_lo
	v_cmp_eq_u32_e32 vcc_lo, 0x40f, v59
	v_lshl_or_b32 v13, v20, 16, v17
	v_lshl_or_b32 v8, v16, 16, v8
	v_and_b32_e32 v10, 0xffff, v10
	v_and_or_b32 v11, 0x8000, v19, v18
	s_wait_alu 0xfffd
	v_cndmask_b32_e32 v28, v58, v30, vcc_lo
	v_cmp_eq_u32_e32 vcc_lo, 0x40f, v61
	s_clause 0x2
	global_store_b32 v[14:15], v8, off
	global_store_b32 v[26:27], v12, off
	;; [unrolled: 1-line block ×3, first 2 shown]
	v_lshrrev_b32_e32 v12, 8, v3
	v_lshl_or_b32 v17, v11, 16, v10
	ds_load_2addr_b32 v[10:11], v9 offset0:87 offset1:136
	s_wait_alu 0xfffd
	v_cndmask_b32_e32 v30, v60, v32, vcc_lo
	v_cmp_ne_u32_e32 vcc_lo, 0, v2
	v_and_or_b32 v18, 0x8000, v31, v28
	v_bfe_u32 v19, v3, 20, 11
	v_lshl_or_b32 v8, v63, 12, v34
	v_and_or_b32 v16, 0x8000, v33, v30
	s_wait_alu 0xfffd
	v_cndmask_b32_e64 v2, 0, 1, vcc_lo
	v_cmp_gt_i32_e32 vcc_lo, 1, v63
	v_and_b32_e32 v13, 0xffff, v18
	global_store_b32 v[44:45], v17, off
	global_load_b32 v21, v25, s[20:21] offset:2156
	v_and_or_b32 v2, 0xffe, v12, v2
	v_sub_nc_u32_e32 v12, 0x3f1, v19
	s_wait_alu 0xfffd
	v_cndmask_b32_e32 v8, v8, v62, vcc_lo
	v_lshl_or_b32 v18, v16, 16, v13
	v_add_nc_u32_e32 v19, 0xfffffc10, v19
	v_or_b32_e32 v16, 0x1000, v2
	v_med3_i32 v15, v12, 0, 13
	v_and_b32_e32 v14, 7, v8
	v_add_co_u32 v12, vcc_lo, v44, s22
	s_wait_alu 0xfffd
	v_add_co_ci_u32_e32 v13, vcc_lo, s23, v45, vcc_lo
	v_lshrrev_b32_e32 v17, v15, v16
	v_cmp_lt_i32_e32 vcc_lo, 5, v14
	v_cmp_eq_u32_e64 s0, 3, v14
	s_wait_dscnt 0x0
	v_lshrrev_b32_e32 v20, 16, v10
	v_lshrrev_b32_e32 v8, 2, v8
	v_lshlrev_b32_e32 v23, v15, v17
	v_mul_f64_e32 v[14:15], s[24:25], v[46:47]
	s_or_b32 vcc_lo, s0, vcc_lo
	v_mul_f16_e32 v24, v20, v22
	s_wait_alu 0xfffe
	v_add_co_ci_u32_e32 v8, vcc_lo, 0, v8, vcc_lo
	v_cmp_ne_u32_e32 vcc_lo, v23, v16
	v_lshrrev_b32_e32 v23, 8, v1
	v_fmac_f16_e32 v24, v10, v7
	v_bfe_u32 v26, v1, 20, 11
	v_lshl_or_b32 v28, v19, 12, v2
	s_wait_alu 0xfffd
	v_cndmask_b32_e64 v16, 0, 1, vcc_lo
	v_cmp_ne_u32_e32 vcc_lo, 0, v0
	v_cvt_f32_f16_e32 v24, v24
	global_store_b32 v[12:13], v18, off
	v_mul_f16_e32 v10, v10, v22
	v_or_b32_e32 v27, v17, v16
	s_wait_alu 0xfffd
	v_cndmask_b32_e64 v0, 0, 1, vcc_lo
	v_cmp_ne_u32_e32 vcc_lo, 0, v34
	v_cvt_f64_f32_e32 v[16:17], v24
	v_fma_f16 v7, v7, v20, -v10
	v_add_nc_u32_e32 v22, 0xfffffc10, v26
	v_and_or_b32 v0, 0xffe, v23, v0
	s_wait_alu 0xfffd
	v_cndmask_b32_e64 v24, 0, 1, vcc_lo
	v_cmp_gt_i32_e32 vcc_lo, 1, v19
	v_sub_nc_u32_e32 v23, 0x3f1, v26
	v_cvt_f32_f16_e32 v7, v7
	v_lshl_or_b32 v20, v22, 12, v0
	v_lshl_or_b32 v24, v24, 9, 0x7c00
	s_wait_alu 0xfffd
	v_cndmask_b32_e32 v27, v28, v27, vcc_lo
	v_cmp_gt_i32_e32 vcc_lo, 31, v63
	v_or_b32_e32 v28, 0x1000, v0
	v_med3_i32 v23, v23, 0, 13
	v_lshrrev_b32_e32 v3, 16, v3
	s_wait_alu 0xfffd
	v_dual_cndmask_b32 v8, 0x7c00, v8 :: v_dual_and_b32 v29, 7, v27
	v_cmp_eq_u32_e32 vcc_lo, 0x40f, v63
	v_lshrrev_b32_e32 v18, v23, v28
	v_lshrrev_b32_e32 v30, 16, v35
	s_delay_alu instid0(VALU_DEP_4)
	v_cmp_eq_u32_e64 s0, 3, v29
	v_and_or_b32 v14, 0x1ff, v15, v14
	s_wait_alu 0xfffd
	v_cndmask_b32_e32 v24, v8, v24, vcc_lo
	v_cmp_lt_i32_e32 vcc_lo, 5, v29
	v_lshlrev_b32_e32 v8, v23, v18
	v_lshrrev_b32_e32 v23, 2, v27
	v_bfe_u32 v26, v15, 20, 11
	v_lshrrev_b32_e32 v1, 16, v1
	s_or_b32 vcc_lo, s0, vcc_lo
	v_cmp_ne_u32_e64 s1, v8, v28
	s_wait_alu 0xfffe
	v_add_co_ci_u32_e32 v10, vcc_lo, 0, v23, vcc_lo
	v_cmp_ne_u32_e32 vcc_lo, 0, v14
	v_lshrrev_b32_e32 v23, 8, v15
	s_wait_alu 0xf1ff
	v_cndmask_b32_e64 v8, 0, 1, s1
	v_cmp_eq_u32_e64 s1, 0x40f, v22
	s_wait_alu 0xfffd
	v_cndmask_b32_e64 v14, 0, 1, vcc_lo
	v_cmp_ne_u32_e32 vcc_lo, 0, v2
	v_or_b32_e32 v18, v18, v8
	v_cvt_f64_f32_e32 v[7:8], v7
	v_mul_f64_e32 v[16:17], s[24:25], v[16:17]
	v_and_or_b32 v14, 0xffe, v23, v14
	s_wait_alu 0xfffd
	v_cndmask_b32_e64 v2, 0, 1, vcc_lo
	v_cmp_gt_i32_e32 vcc_lo, 1, v22
	s_delay_alu instid0(VALU_DEP_3) | instskip(NEXT) | instid1(VALU_DEP_3)
	v_or_b32_e32 v27, 0x1000, v14
	v_lshl_or_b32 v2, v2, 9, 0x7c00
	s_wait_alu 0xfffd
	v_cndmask_b32_e32 v18, v20, v18, vcc_lo
	v_cmp_gt_i32_e32 vcc_lo, 31, v19
	v_sub_nc_u32_e32 v20, 0x3f1, v26
	s_delay_alu instid0(VALU_DEP_3)
	v_and_b32_e32 v23, 7, v18
	s_wait_alu 0xfffd
	v_cndmask_b32_e32 v10, 0x7c00, v10, vcc_lo
	v_cmp_eq_u32_e32 vcc_lo, 0x40f, v19
	v_med3_i32 v20, v20, 0, 13
	v_cmp_eq_u32_e64 s0, 3, v23
	s_wait_alu 0xfffd
	v_cndmask_b32_e32 v2, v10, v2, vcc_lo
	s_delay_alu instid0(VALU_DEP_3)
	v_lshrrev_b32_e32 v19, v20, v27
	v_cmp_lt_i32_e32 vcc_lo, 5, v23
	v_and_or_b32 v10, 0x8000, v30, v24
	v_lshrrev_b32_e32 v23, 16, v11
	v_and_or_b32 v2, 0x8000, v3, v2
	v_lshrrev_b32_e32 v3, 2, v18
	v_lshlrev_b32_e32 v18, v20, v19
	s_or_b32 vcc_lo, s0, vcc_lo
	v_and_b32_e32 v10, 0xffff, v10
	s_wait_loadcnt 0x3
	v_lshrrev_b32_e32 v24, 16, v5
	s_wait_alu 0xfffe
	v_add_co_ci_u32_e32 v3, vcc_lo, 0, v3, vcc_lo
	v_cmp_ne_u32_e32 vcc_lo, v18, v27
	v_lshl_or_b32 v20, v2, 16, v10
	v_add_nc_u32_e32 v18, 0xfffffc10, v26
	s_wait_alu 0xfffd
	v_cndmask_b32_e64 v2, 0, 1, vcc_lo
	v_cmp_gt_i32_e32 vcc_lo, 31, v22
	v_bfe_u32 v26, v17, 20, 11
	s_delay_alu instid0(VALU_DEP_3)
	v_or_b32_e32 v19, v19, v2
	s_wait_alu 0xfffd
	v_cndmask_b32_e32 v10, 0x7c00, v3, vcc_lo
	v_cmp_ne_u32_e32 vcc_lo, 0, v0
	v_mul_f64_e32 v[2:3], s[24:25], v[7:8]
	v_lshl_or_b32 v7, v18, 12, v14
	v_and_or_b32 v8, 0x1ff, v17, v16
	v_mul_f16_e32 v16, v23, v24
	s_wait_alu 0xfffd
	v_cndmask_b32_e64 v0, 0, 1, vcc_lo
	v_cmp_gt_i32_e32 vcc_lo, 1, v18
	v_sub_nc_u32_e32 v29, 0x3f1, v26
	v_fmac_f16_e32 v16, v11, v5
	s_delay_alu instid0(VALU_DEP_4)
	v_lshl_or_b32 v0, v0, 9, 0x7c00
	s_wait_alu 0xfffd
	v_cndmask_b32_e32 v19, v7, v19, vcc_lo
	v_cmp_ne_u32_e32 vcc_lo, 0, v8
	v_lshrrev_b32_e32 v8, 8, v17
	v_cvt_f32_f16_e32 v16, v16
	v_cndmask_b32_e64 v0, v10, v0, s1
	v_and_b32_e32 v27, 7, v19
	s_wait_alu 0xfffd
	v_cndmask_b32_e64 v7, 0, 1, vcc_lo
	v_lshrrev_b32_e32 v10, 2, v19
	v_mul_f16_e32 v11, v11, v24
	v_and_or_b32 v22, 0x8000, v1, v0
	v_cmp_lt_i32_e32 vcc_lo, 5, v27
	v_and_or_b32 v28, 0xffe, v8, v7
	v_cvt_f64_f32_e32 v[7:8], v16
	v_cmp_eq_u32_e64 s0, 3, v27
	v_med3_i32 v27, v29, 0, 13
	v_fma_f16 v5, v5, v23, -v11
	v_or_b32_e32 v16, 0x1000, v28
	v_and_b32_e32 v22, 0xffff, v22
	s_or_b32 vcc_lo, s0, vcc_lo
	v_lshrrev_b32_e32 v17, 16, v17
	s_wait_alu 0xfffe
	v_add_co_ci_u32_e32 v10, vcc_lo, 0, v10, vcc_lo
	v_lshrrev_b32_e32 v19, v27, v16
	v_cmp_ne_u32_e32 vcc_lo, 0, v14
	v_cvt_f32_f16_e32 v5, v5
	s_delay_alu instid0(VALU_DEP_3)
	v_lshlrev_b32_e32 v0, v27, v19
	s_wait_alu 0xfffd
	v_cndmask_b32_e64 v14, 0, 1, vcc_lo
	v_cmp_gt_i32_e32 vcc_lo, 31, v18
	v_and_or_b32 v1, 0x1ff, v3, v2
	v_add_nc_u32_e32 v2, 0xfffffc10, v26
	v_bfe_u32 v24, v3, 20, 11
	v_lshl_or_b32 v14, v14, 9, 0x7c00
	s_wait_alu 0xfffd
	v_cndmask_b32_e32 v10, 0x7c00, v10, vcc_lo
	v_cmp_ne_u32_e32 vcc_lo, v0, v16
	v_lshrrev_b32_e32 v16, 8, v3
	v_lshl_or_b32 v11, v2, 12, v28
	s_wait_alu 0xfffd
	v_cndmask_b32_e64 v0, 0, 1, vcc_lo
	v_cmp_ne_u32_e32 vcc_lo, 0, v1
	s_delay_alu instid0(VALU_DEP_2) | instskip(SKIP_3) | instid1(VALU_DEP_2)
	v_or_b32_e32 v0, v19, v0
	s_wait_alu 0xfffd
	v_cndmask_b32_e64 v1, 0, 1, vcc_lo
	v_cmp_gt_i32_e32 vcc_lo, 1, v2
	v_and_or_b32 v16, 0xffe, v16, v1
	v_sub_nc_u32_e32 v1, 0x3f1, v24
	s_wait_alu 0xfffd
	v_cndmask_b32_e32 v19, v11, v0, vcc_lo
	v_cmp_eq_u32_e32 vcc_lo, 0x40f, v18
	v_or_b32_e32 v23, 0x1000, v16
	v_med3_i32 v26, v1, 0, 13
	v_mul_f64_e32 v[0:1], s[24:25], v[7:8]
	v_cvt_f64_f32_e32 v[7:8], v5
	s_wait_alu 0xfffd
	v_cndmask_b32_e32 v5, v10, v14, vcc_lo
	ds_load_2addr_b32 v[9:10], v9 offset0:185 offset1:234
	v_lshrrev_b32_e32 v18, v26, v23
	v_lshrrev_b32_e32 v14, 16, v15
	v_and_b32_e32 v15, 7, v19
	v_add_co_u32 v11, vcc_lo, v12, s22
	s_wait_alu 0xfffd
	v_add_co_ci_u32_e32 v12, vcc_lo, s23, v13, vcc_lo
	v_lshlrev_b32_e32 v13, v26, v18
	v_cmp_lt_i32_e32 vcc_lo, 5, v15
	v_cmp_eq_u32_e64 s0, 3, v15
	v_and_or_b32 v5, 0x8000, v14, v5
	v_lshrrev_b32_e32 v14, 2, v19
	v_cmp_ne_u32_e64 s1, v13, v23
	v_add_nc_u32_e32 v15, 0xfffffc10, v24
	s_or_b32 vcc_lo, s0, vcc_lo
	s_wait_loadcnt 0x2
	v_lshrrev_b32_e32 v23, 16, v4
	s_wait_alu 0xfffe
	v_add_co_ci_u32_e32 v14, vcc_lo, 0, v14, vcc_lo
	v_cndmask_b32_e64 v13, 0, 1, s1
	s_wait_dscnt 0x0
	v_lshrrev_b32_e32 v19, 16, v9
	v_cmp_ne_u32_e32 vcc_lo, 0, v28
	v_lshl_or_b32 v22, v5, 16, v22
	v_or_b32_e32 v13, v18, v13
	v_lshl_or_b32 v18, v15, 12, v16
	s_wait_alu 0xfffd
	v_cndmask_b32_e64 v24, 0, 1, vcc_lo
	v_mul_f16_e32 v26, v19, v23
	v_cmp_gt_i32_e32 vcc_lo, 1, v15
	s_delay_alu instid0(VALU_DEP_2)
	v_fmac_f16_e32 v26, v9, v4
	s_wait_alu 0xfffd
	v_cndmask_b32_e32 v18, v18, v13, vcc_lo
	v_cmp_gt_i32_e32 vcc_lo, 31, v2
	v_and_or_b32 v0, 0x1ff, v1, v0
	v_mul_f64_e32 v[7:8], s[24:25], v[7:8]
	v_cvt_f32_f16_e32 v26, v26
	v_bfe_u32 v27, v1, 20, 11
	s_wait_alu 0xfffd
	v_cndmask_b32_e32 v13, 0x7c00, v14, vcc_lo
	v_lshl_or_b32 v14, v24, 9, 0x7c00
	v_cmp_eq_u32_e32 vcc_lo, 0x40f, v2
	v_and_b32_e32 v24, 7, v18
	v_cmp_ne_u32_e64 s0, 0, v0
	v_lshrrev_b32_e32 v18, 2, v18
	v_mul_f16_e32 v9, v9, v23
	s_wait_alu 0xfffd
	v_cndmask_b32_e32 v2, v13, v14, vcc_lo
	v_cvt_f64_f32_e32 v[13:14], v26
	v_cmp_lt_i32_e32 vcc_lo, 5, v24
	s_wait_alu 0xf1ff
	v_cndmask_b32_e64 v0, 0, 1, s0
	v_cmp_eq_u32_e64 s0, 3, v24
	v_lshrrev_b32_e32 v26, 8, v1
	v_sub_nc_u32_e32 v24, 0x3f1, v27
	v_and_or_b32 v17, 0x8000, v17, v2
	v_fma_f16 v4, v4, v19, -v9
	s_or_b32 vcc_lo, s0, vcc_lo
	v_and_or_b32 v0, 0xffe, v26, v0
	s_wait_alu 0xfffe
	v_add_co_ci_u32_e32 v18, vcc_lo, 0, v18, vcc_lo
	v_cmp_ne_u32_e32 vcc_lo, 0, v16
	v_med3_i32 v24, v24, 0, 13
	v_or_b32_e32 v26, 0x1000, v0
	v_cvt_f32_f16_e32 v4, v4
	v_lshrrev_b32_e32 v1, 16, v1
	s_wait_alu 0xfffd
	v_cndmask_b32_e64 v16, 0, 1, vcc_lo
	v_cmp_gt_i32_e32 vcc_lo, 31, v15
	v_lshrrev_b32_e32 v5, v24, v26
	s_delay_alu instid0(VALU_DEP_3)
	v_lshl_or_b32 v16, v16, 9, 0x7c00
	s_wait_alu 0xfffd
	v_cndmask_b32_e32 v18, 0x7c00, v18, vcc_lo
	v_cmp_eq_u32_e32 vcc_lo, 0x40f, v15
	v_and_or_b32 v7, 0x1ff, v8, v7
	v_lshrrev_b32_e32 v9, 8, v8
	s_wait_alu 0xfffd
	v_dual_cndmask_b32 v15, v18, v16 :: v_dual_lshlrev_b32 v18, v24, v5
	v_add_co_u32 v2, vcc_lo, v11, s22
	v_lshrrev_b32_e32 v16, 16, v3
	s_wait_alu 0xfffd
	v_add_co_ci_u32_e32 v3, vcc_lo, s23, v12, vcc_lo
	v_cmp_ne_u32_e32 vcc_lo, v18, v26
	v_add_nc_u32_e32 v18, 0xfffffc10, v27
	v_and_or_b32 v15, 0x8000, v16, v15
	v_and_b32_e32 v16, 0xffff, v17
	v_mul_f64_e32 v[13:14], s[24:25], v[13:14]
	s_wait_alu 0xfffd
	v_cndmask_b32_e64 v17, 0, 1, vcc_lo
	v_cmp_ne_u32_e32 vcc_lo, 0, v7
	v_bfe_u32 v19, v8, 20, 11
	global_store_b32 v[11:12], v20, off
	global_store_b32 v[2:3], v22, off
	v_lshl_or_b32 v15, v15, 16, v16
	v_or_b32_e32 v5, v5, v17
	s_wait_alu 0xfffd
	v_cndmask_b32_e64 v7, 0, 1, vcc_lo
	v_lshl_or_b32 v17, v18, 12, v0
	v_cmp_gt_i32_e32 vcc_lo, 1, v18
	v_lshrrev_b32_e32 v16, 16, v10
	s_wait_loadcnt 0x1
	v_lshrrev_b32_e32 v20, 16, v6
	v_and_or_b32 v7, 0xffe, v9, v7
	v_sub_nc_u32_e32 v9, 0x3f1, v19
	s_wait_alu 0xfffd
	v_cndmask_b32_e32 v17, v17, v5, vcc_lo
	v_cvt_f64_f32_e32 v[4:5], v4
	v_add_co_u32 v2, vcc_lo, v2, s22
	v_or_b32_e32 v23, 0x1000, v7
	v_med3_i32 v9, v9, 0, 13
	v_and_b32_e32 v11, 7, v17
	s_wait_alu 0xfffd
	v_add_co_ci_u32_e32 v3, vcc_lo, s23, v3, vcc_lo
	v_lshrrev_b32_e32 v8, 16, v8
	v_lshrrev_b32_e32 v12, v9, v23
	v_cmp_lt_i32_e32 vcc_lo, 5, v11
	v_cmp_eq_u32_e64 s0, 3, v11
	v_lshrrev_b32_e32 v11, 2, v17
	v_add_nc_u32_e32 v17, 0xfffffc10, v19
	v_lshlrev_b32_e32 v9, v9, v12
	v_mul_f16_e32 v19, v16, v20
	s_or_b32 vcc_lo, s0, vcc_lo
	s_wait_alu 0xfffe
	v_add_co_ci_u32_e32 v22, vcc_lo, 0, v11, vcc_lo
	v_cmp_ne_u32_e64 s1, v9, v23
	v_cmp_ne_u32_e32 vcc_lo, 0, v0
	v_fmac_f16_e32 v19, v10, v6
	v_lshl_or_b32 v11, v17, 12, v7
	v_lshrrev_b32_e32 v23, 8, v14
	s_wait_alu 0xf1ff
	v_cndmask_b32_e64 v9, 0, 1, s1
	s_wait_alu 0xfffd
	v_cndmask_b32_e64 v0, 0, 1, vcc_lo
	v_cmp_gt_i32_e32 vcc_lo, 1, v17
	v_cmp_eq_u32_e64 s1, 0x40f, v18
	v_or_b32_e32 v9, v12, v9
	v_and_or_b32 v12, 0x1ff, v14, v13
	v_cvt_f32_f16_e32 v13, v19
	v_lshl_or_b32 v0, v0, 9, 0x7c00
	s_wait_alu 0xfffd
	v_cndmask_b32_e32 v9, v11, v9, vcc_lo
	v_cmp_ne_u32_e32 vcc_lo, 0, v12
	v_cvt_f64_f32_e32 v[11:12], v13
	v_bfe_u32 v13, v14, 20, 11
	v_mul_f64_e32 v[4:5], s[24:25], v[4:5]
	v_and_b32_e32 v24, 7, v9
	s_wait_alu 0xfffd
	v_cndmask_b32_e64 v19, 0, 1, vcc_lo
	v_cmp_gt_i32_e32 vcc_lo, 31, v18
	v_lshrrev_b32_e32 v9, 2, v9
	v_cmp_eq_u32_e64 s0, 3, v24
	s_delay_alu instid0(VALU_DEP_4)
	v_and_or_b32 v19, 0xffe, v23, v19
	v_sub_nc_u32_e32 v23, 0x3f1, v13
	s_wait_alu 0xfffd
	v_cndmask_b32_e32 v22, 0x7c00, v22, vcc_lo
	v_cmp_lt_i32_e32 vcc_lo, 5, v24
	v_add_nc_u32_e32 v13, 0xfffffc10, v13
	v_or_b32_e32 v24, 0x1000, v19
	v_med3_i32 v23, v23, 0, 13
	s_wait_alu 0xf1ff
	v_cndmask_b32_e64 v0, v22, v0, s1
	s_or_b32 vcc_lo, s0, vcc_lo
	s_wait_alu 0xfffe
	v_add_co_ci_u32_e32 v9, vcc_lo, 0, v9, vcc_lo
	v_lshrrev_b32_e32 v18, v23, v24
	v_cmp_ne_u32_e32 vcc_lo, 0, v7
	v_and_or_b32 v22, 0x8000, v1, v0
	s_delay_alu instid0(VALU_DEP_3) | instskip(SKIP_4) | instid1(VALU_DEP_3)
	v_lshlrev_b32_e32 v0, v23, v18
	s_wait_alu 0xfffd
	v_cndmask_b32_e64 v7, 0, 1, vcc_lo
	v_cmp_gt_i32_e32 vcc_lo, 31, v17
	v_and_b32_e32 v22, 0xffff, v22
	v_lshl_or_b32 v7, v7, 9, 0x7c00
	s_wait_alu 0xfffd
	v_cndmask_b32_e32 v1, 0x7c00, v9, vcc_lo
	v_cmp_ne_u32_e32 vcc_lo, v0, v24
	v_add_nc_u32_e32 v9, 0x800, v25
	s_wait_alu 0xfffd
	v_cndmask_b32_e64 v23, 0, 1, vcc_lo
	v_cmp_eq_u32_e32 vcc_lo, 0x40f, v17
	v_and_or_b32 v4, 0x1ff, v5, v4
	s_delay_alu instid0(VALU_DEP_3)
	v_or_b32_e32 v17, v18, v23
	s_wait_alu 0xfffd
	v_cndmask_b32_e32 v7, v1, v7, vcc_lo
	ds_load_2addr_b32 v[0:1], v9 offset0:27 offset1:76
	v_mul_f16_e32 v18, v10, v20
	v_mul_f64_e32 v[9:10], s[24:25], v[11:12]
	v_lshl_or_b32 v20, v13, 12, v19
	v_cmp_gt_i32_e32 vcc_lo, 1, v13
	v_lshrrev_b32_e32 v12, 8, v5
	v_fma_f16 v6, v6, v16, -v18
	v_bfe_u32 v16, v5, 20, 11
	v_and_or_b32 v8, 0x8000, v8, v7
	s_wait_alu 0xfffd
	v_cndmask_b32_e32 v11, v20, v17, vcc_lo
	v_cmp_ne_u32_e32 vcc_lo, 0, v4
	v_cvt_f32_f16_e32 v6, v6
	s_wait_loadcnt 0x0
	v_lshrrev_b32_e32 v20, 16, v21
	v_and_b32_e32 v17, 7, v11
	s_wait_alu 0xfffd
	v_cndmask_b32_e64 v4, 0, 1, vcc_lo
	v_cvt_f64_f32_e32 v[6:7], v6
	s_delay_alu instid0(VALU_DEP_3) | instskip(NEXT) | instid1(VALU_DEP_3)
	v_cmp_lt_i32_e32 vcc_lo, 5, v17
	v_and_or_b32 v4, 0xffe, v12, v4
	v_sub_nc_u32_e32 v12, 0x3f1, v16
	s_wait_dscnt 0x0
	v_lshrrev_b32_e32 v18, 16, v0
	v_cmp_eq_u32_e64 s0, 3, v17
	v_lshl_or_b32 v17, v8, 16, v22
	v_lshrrev_b32_e32 v8, 2, v11
	v_or_b32_e32 v23, 0x1000, v4
	v_med3_i32 v12, v12, 0, 13
	v_mul_f16_e32 v24, v18, v20
	s_or_b32 vcc_lo, s0, vcc_lo
	v_add_nc_u32_e32 v16, 0xfffffc10, v16
	s_wait_alu 0xfffe
	v_add_co_ci_u32_e32 v8, vcc_lo, 0, v8, vcc_lo
	v_lshrrev_b32_e32 v11, v12, v23
	v_fmac_f16_e32 v24, v0, v21
	v_cmp_ne_u32_e32 vcc_lo, 0, v19
	v_mul_f16_e32 v0, v0, v20
	s_delay_alu instid0(VALU_DEP_4) | instskip(NEXT) | instid1(VALU_DEP_4)
	v_lshlrev_b32_e32 v12, v12, v11
	v_cvt_f32_f16_e32 v22, v24
	s_wait_alu 0xfffd
	v_cndmask_b32_e64 v19, 0, 1, vcc_lo
	v_cmp_gt_i32_e32 vcc_lo, 31, v13
	v_and_or_b32 v26, 0x1ff, v10, v9
	v_fma_f16 v0, v21, v18, -v0
	s_delay_alu instid0(VALU_DEP_4)
	v_lshl_or_b32 v19, v19, 9, 0x7c00
	s_wait_alu 0xfffd
	v_cndmask_b32_e32 v24, 0x7c00, v8, vcc_lo
	v_cvt_f64_f32_e32 v[8:9], v22
	v_cmp_ne_u32_e32 vcc_lo, v12, v23
	v_lshrrev_b32_e32 v22, 8, v10
	v_bfe_u32 v23, v10, 20, 11
	v_cvt_f32_f16_e32 v0, v0
	v_lshrrev_b32_e32 v10, 16, v10
	s_wait_alu 0xfffd
	v_cndmask_b32_e64 v12, 0, 1, vcc_lo
	v_cmp_ne_u32_e32 vcc_lo, 0, v26
	v_mul_f64_e32 v[6:7], s[24:25], v[6:7]
	s_delay_alu instid0(VALU_DEP_3) | instskip(SKIP_4) | instid1(VALU_DEP_3)
	v_or_b32_e32 v11, v11, v12
	s_wait_alu 0xfffd
	v_cndmask_b32_e64 v20, 0, 1, vcc_lo
	v_lshl_or_b32 v12, v16, 12, v4
	v_cmp_gt_i32_e32 vcc_lo, 1, v16
	v_and_or_b32 v18, 0xffe, v22, v20
	v_sub_nc_u32_e32 v20, 0x3f1, v23
	s_wait_alu 0xfffd
	v_cndmask_b32_e32 v21, v12, v11, vcc_lo
	v_cmp_eq_u32_e32 vcc_lo, 0x40f, v13
	v_cvt_f64_f32_e32 v[11:12], v0
	v_or_b32_e32 v22, 0x1000, v18
	v_med3_i32 v20, v20, 0, 13
	s_wait_alu 0xfffd
	v_cndmask_b32_e32 v0, v24, v19, vcc_lo
	v_and_b32_e32 v24, 7, v21
	v_lshrrev_b32_e32 v19, 16, v14
	v_add_co_u32 v13, vcc_lo, v2, s22
	v_lshrrev_b32_e32 v26, v20, v22
	s_wait_alu 0xfffd
	v_add_co_ci_u32_e32 v14, vcc_lo, s23, v3, vcc_lo
	v_cmp_lt_i32_e32 vcc_lo, 5, v24
	v_cmp_eq_u32_e64 s0, 3, v24
	v_and_or_b32 v0, 0x8000, v19, v0
	v_lshrrev_b32_e32 v19, 2, v21
	v_lshlrev_b32_e32 v20, v20, v26
	v_mul_f64_e32 v[8:9], s[24:25], v[8:9]
	s_or_b32 vcc_lo, s0, vcc_lo
	v_add_nc_u32_e32 v21, 0xfffffc10, v23
	s_wait_alu 0xfffe
	v_add_co_ci_u32_e32 v19, vcc_lo, 0, v19, vcc_lo
	v_cmp_ne_u32_e64 s1, v20, v22
	v_cmp_ne_u32_e32 vcc_lo, 0, v4
	v_lshl_or_b32 v22, v21, 12, v18
	v_and_or_b32 v6, 0x1ff, v7, v6
	v_and_b32_e32 v0, 0xffff, v0
	s_wait_alu 0xf1ff
	v_cndmask_b32_e64 v20, 0, 1, s1
	s_wait_alu 0xfffd
	v_cndmask_b32_e64 v4, 0, 1, vcc_lo
	v_cmp_gt_i32_e32 vcc_lo, 31, v16
	v_lshrrev_b32_e32 v23, 8, v7
	v_or_b32_e32 v20, v26, v20
	s_delay_alu instid0(VALU_DEP_4)
	v_lshl_or_b32 v4, v4, 9, 0x7c00
	s_wait_alu 0xfffd
	v_cndmask_b32_e32 v19, 0x7c00, v19, vcc_lo
	v_cmp_gt_i32_e32 vcc_lo, 1, v21
	s_wait_alu 0xfffd
	v_cndmask_b32_e32 v20, v22, v20, vcc_lo
	v_cmp_eq_u32_e32 vcc_lo, 0x40f, v16
	s_delay_alu instid0(VALU_DEP_2)
	v_and_b32_e32 v22, 7, v20
	s_wait_alu 0xfffd
	v_cndmask_b32_e32 v16, v19, v4, vcc_lo
	v_lshrrev_b32_e32 v19, 16, v5
	v_cmp_ne_u32_e32 vcc_lo, 0, v6
	v_mul_f64_e32 v[4:5], s[24:25], v[11:12]
	v_bfe_u32 v11, v7, 20, 11
	v_cmp_eq_u32_e64 s0, 3, v22
	v_and_or_b32 v12, 0x8000, v19, v16
	s_wait_alu 0xfffd
	v_cndmask_b32_e64 v6, 0, 1, vcc_lo
	v_cmp_lt_i32_e32 vcc_lo, 5, v22
	v_sub_nc_u32_e32 v16, 0x3f1, v11
	v_and_or_b32 v8, 0x1ff, v9, v8
	v_lshl_or_b32 v0, v12, 16, v0
	v_lshrrev_b32_e32 v12, 2, v20
	v_and_or_b32 v6, 0xffe, v23, v6
	s_or_b32 vcc_lo, s0, vcc_lo
	v_med3_i32 v16, v16, 0, 13
	v_lshrrev_b32_e32 v22, 8, v9
	s_wait_alu 0xfffe
	v_add_co_ci_u32_e32 v12, vcc_lo, 0, v12, vcc_lo
	v_or_b32_e32 v19, 0x1000, v6
	v_cmp_ne_u32_e32 vcc_lo, 0, v18
	v_bfe_u32 v23, v9, 20, 11
	v_add_nc_u32_e32 v11, 0xfffffc10, v11
	v_lshrrev_b32_e32 v7, 16, v7
	v_lshrrev_b32_e32 v20, v16, v19
	s_wait_alu 0xfffd
	v_cndmask_b32_e64 v18, 0, 1, vcc_lo
	v_cmp_gt_i32_e32 vcc_lo, 31, v21
	v_lshrrev_b32_e32 v9, 16, v9
	v_lshlrev_b32_e32 v16, v16, v20
	s_delay_alu instid0(VALU_DEP_4)
	v_lshl_or_b32 v18, v18, 9, 0x7c00
	s_wait_alu 0xfffd
	v_cndmask_b32_e32 v12, 0x7c00, v12, vcc_lo
	v_cmp_ne_u32_e32 vcc_lo, 0, v8
	s_wait_alu 0xfffd
	v_cndmask_b32_e64 v8, 0, 1, vcc_lo
	v_cmp_ne_u32_e32 vcc_lo, v16, v19
	v_sub_nc_u32_e32 v19, 0x3f1, v23
	v_and_or_b32 v4, 0x1ff, v5, v4
	s_delay_alu instid0(VALU_DEP_4)
	v_and_or_b32 v8, 0xffe, v22, v8
	s_wait_alu 0xfffd
	v_cndmask_b32_e64 v16, 0, 1, vcc_lo
	v_cmp_eq_u32_e32 vcc_lo, 0x40f, v21
	v_med3_i32 v19, v19, 0, 13
	v_lshrrev_b32_e32 v21, 8, v5
	v_bfe_u32 v22, v5, 20, 11
	v_or_b32_e32 v16, v20, v16
	s_wait_alu 0xfffd
	v_cndmask_b32_e32 v12, v12, v18, vcc_lo
	v_lshl_or_b32 v18, v11, 12, v6
	v_or_b32_e32 v20, 0x1000, v8
	v_cmp_gt_i32_e32 vcc_lo, 1, v11
	s_delay_alu instid0(VALU_DEP_4)
	v_and_or_b32 v10, 0x8000, v10, v12
	v_sub_nc_u32_e32 v12, 0x3f1, v22
	s_wait_alu 0xfffd
	v_cndmask_b32_e32 v16, v18, v16, vcc_lo
	v_lshrrev_b32_e32 v18, v19, v20
	v_cmp_ne_u32_e32 vcc_lo, 0, v4
	v_med3_i32 v12, v12, 0, 13
	s_delay_alu instid0(VALU_DEP_4) | instskip(NEXT) | instid1(VALU_DEP_4)
	v_and_b32_e32 v24, 7, v16
	v_lshlrev_b32_e32 v19, v19, v18
	s_wait_alu 0xfffd
	v_cndmask_b32_e64 v4, 0, 1, vcc_lo
	v_lshrrev_b32_e32 v16, 2, v16
	v_cmp_lt_i32_e32 vcc_lo, 5, v24
	v_cmp_ne_u32_e64 s0, v19, v20
	s_delay_alu instid0(VALU_DEP_4) | instskip(SKIP_2) | instid1(VALU_DEP_3)
	v_and_or_b32 v4, 0xffe, v21, v4
	v_add_nc_u32_e32 v21, 0xfffffc10, v23
	s_wait_alu 0xf1ff
	v_cndmask_b32_e64 v19, 0, 1, s0
	v_cmp_eq_u32_e64 s0, 3, v24
	v_or_b32_e32 v20, 0x1000, v4
	v_lshl_or_b32 v23, v21, 12, v8
	s_delay_alu instid0(VALU_DEP_4) | instskip(NEXT) | instid1(VALU_DEP_4)
	v_or_b32_e32 v18, v18, v19
	s_or_b32 vcc_lo, s0, vcc_lo
	s_delay_alu instid0(VALU_DEP_3) | instskip(SKIP_3) | instid1(VALU_DEP_3)
	v_lshrrev_b32_e32 v19, v12, v20
	s_wait_alu 0xfffe
	v_add_co_ci_u32_e32 v16, vcc_lo, 0, v16, vcc_lo
	v_cmp_gt_i32_e32 vcc_lo, 1, v21
	v_lshlrev_b32_e32 v12, v12, v19
	s_wait_alu 0xfffd
	v_cndmask_b32_e32 v18, v23, v18, vcc_lo
	v_cmp_ne_u32_e32 vcc_lo, 0, v6
	s_wait_alu 0xfffd
	v_cndmask_b32_e64 v6, 0, 1, vcc_lo
	v_cmp_ne_u32_e32 vcc_lo, v12, v20
	v_add_nc_u32_e32 v20, 0xfffffc10, v22
	v_and_b32_e32 v22, 7, v18
	s_delay_alu instid0(VALU_DEP_4)
	v_lshl_or_b32 v6, v6, 9, 0x7c00
	s_wait_alu 0xfffd
	v_cndmask_b32_e64 v12, 0, 1, vcc_lo
	v_cmp_gt_i32_e32 vcc_lo, 31, v11
	v_cmp_gt_i32_e64 s1, 1, v20
	v_cmp_eq_u32_e64 s0, 3, v22
	s_delay_alu instid0(VALU_DEP_4)
	v_or_b32_e32 v12, v19, v12
	v_lshl_or_b32 v19, v20, 12, v4
	s_wait_alu 0xfffd
	v_cndmask_b32_e32 v16, 0x7c00, v16, vcc_lo
	v_cmp_lt_i32_e32 vcc_lo, 5, v22
	s_wait_alu 0xf1ff
	v_cndmask_b32_e64 v12, v19, v12, s1
	v_cmp_eq_u32_e64 s1, 0x40f, v11
	v_lshrrev_b32_e32 v11, 2, v18
	s_or_b32 vcc_lo, s0, vcc_lo
	s_delay_alu instid0(VALU_DEP_2) | instskip(SKIP_1) | instid1(VALU_DEP_2)
	v_cndmask_b32_e64 v6, v16, v6, s1
	s_wait_alu 0xfffe
	v_add_co_ci_u32_e32 v11, vcc_lo, 0, v11, vcc_lo
	v_and_b32_e32 v16, 7, v12
	v_cmp_ne_u32_e32 vcc_lo, 0, v8
	v_lshrrev_b32_e32 v12, 2, v12
	v_cmp_gt_i32_e64 s1, 31, v21
	v_and_or_b32 v6, 0x8000, v7, v6
	v_cmp_eq_u32_e64 s0, 3, v16
	s_wait_alu 0xfffd
	v_cndmask_b32_e64 v8, 0, 1, vcc_lo
	v_cmp_lt_i32_e32 vcc_lo, 5, v16
	s_wait_alu 0xf1ff
	v_cndmask_b32_e64 v11, 0x7c00, v11, s1
	v_and_b32_e32 v7, 0xffff, v10
	v_lshrrev_b32_e32 v10, 16, v5
	v_lshl_or_b32 v8, v8, 9, 0x7c00
	s_or_b32 vcc_lo, s0, vcc_lo
	s_wait_alu 0xfffe
	v_add_co_ci_u32_e32 v12, vcc_lo, 0, v12, vcc_lo
	v_cmp_ne_u32_e32 vcc_lo, 0, v4
	s_wait_alu 0xfffd
	v_cndmask_b32_e64 v4, 0, 1, vcc_lo
	v_cmp_eq_u32_e32 vcc_lo, 0x40f, v21
	s_delay_alu instid0(VALU_DEP_2) | instskip(SKIP_3) | instid1(VALU_DEP_2)
	v_lshl_or_b32 v4, v4, 9, 0x7c00
	s_wait_alu 0xfffd
	v_cndmask_b32_e32 v8, v11, v8, vcc_lo
	v_cmp_gt_i32_e32 vcc_lo, 31, v20
	v_and_or_b32 v8, 0x8000, v9, v8
	s_wait_alu 0xfffd
	v_cndmask_b32_e32 v11, 0x7c00, v12, vcc_lo
	v_cmp_eq_u32_e32 vcc_lo, 0x40f, v20
	s_delay_alu instid0(VALU_DEP_3) | instskip(SKIP_1) | instid1(VALU_DEP_3)
	v_and_b32_e32 v8, 0xffff, v8
	s_wait_alu 0xfffd
	v_cndmask_b32_e32 v9, v11, v4, vcc_lo
	v_add_co_u32 v4, vcc_lo, v13, s22
	s_wait_alu 0xfffd
	v_add_co_ci_u32_e32 v5, vcc_lo, s23, v14, vcc_lo
	v_lshl_or_b32 v11, v6, 16, v7
	v_and_or_b32 v9, 0x8000, v10, v9
	v_add_co_u32 v6, vcc_lo, v4, s22
	s_wait_alu 0xfffd
	v_add_co_ci_u32_e32 v7, vcc_lo, s23, v5, vcc_lo
	s_delay_alu instid0(VALU_DEP_3) | instskip(NEXT) | instid1(VALU_DEP_3)
	v_lshl_or_b32 v10, v9, 16, v8
	v_add_co_u32 v8, vcc_lo, v6, s22
	s_wait_alu 0xfffd
	s_delay_alu instid0(VALU_DEP_3)
	v_add_co_ci_u32_e32 v9, vcc_lo, s23, v7, vcc_lo
	global_store_b32 v[2:3], v15, off
	global_store_b32 v[13:14], v17, off
	;; [unrolled: 1-line block ×5, first 2 shown]
	global_load_b32 v0, v25, s[20:21] offset:2352
	v_lshrrev_b32_e32 v2, 16, v1
	s_wait_loadcnt 0x0
	v_lshrrev_b32_e32 v3, 16, v0
	s_delay_alu instid0(VALU_DEP_1) | instskip(SKIP_1) | instid1(VALU_DEP_2)
	v_mul_f16_e32 v4, v2, v3
	v_mul_f16_e32 v3, v1, v3
	v_fmac_f16_e32 v4, v1, v0
	s_delay_alu instid0(VALU_DEP_2) | instskip(NEXT) | instid1(VALU_DEP_2)
	v_fma_f16 v0, v0, v2, -v3
	v_cvt_f32_f16_e32 v1, v4
	s_delay_alu instid0(VALU_DEP_2) | instskip(NEXT) | instid1(VALU_DEP_2)
	v_cvt_f32_f16_e32 v2, v0
	v_cvt_f64_f32_e32 v[0:1], v1
	s_delay_alu instid0(VALU_DEP_2) | instskip(NEXT) | instid1(VALU_DEP_2)
	v_cvt_f64_f32_e32 v[2:3], v2
	v_mul_f64_e32 v[0:1], s[24:25], v[0:1]
	s_delay_alu instid0(VALU_DEP_2) | instskip(NEXT) | instid1(VALU_DEP_2)
	v_mul_f64_e32 v[2:3], s[24:25], v[2:3]
	v_and_or_b32 v0, 0x1ff, v1, v0
	s_delay_alu instid0(VALU_DEP_2)
	v_and_or_b32 v2, 0x1ff, v3, v2
	v_lshrrev_b32_e32 v4, 8, v1
	v_bfe_u32 v5, v1, 20, 11
	v_lshrrev_b32_e32 v6, 8, v3
	v_cmp_ne_u32_e32 vcc_lo, 0, v0
	v_bfe_u32 v7, v3, 20, 11
	v_lshrrev_b32_e32 v1, 16, v1
	v_lshrrev_b32_e32 v3, 16, v3
	s_wait_alu 0xfffd
	v_cndmask_b32_e64 v0, 0, 1, vcc_lo
	v_cmp_ne_u32_e32 vcc_lo, 0, v2
	s_delay_alu instid0(VALU_DEP_2)
	v_and_or_b32 v0, 0xffe, v4, v0
	s_wait_alu 0xfffd
	v_cndmask_b32_e64 v2, 0, 1, vcc_lo
	v_sub_nc_u32_e32 v4, 0x3f1, v5
	v_add_nc_u32_e32 v5, 0xfffffc10, v5
	v_or_b32_e32 v10, 0x1000, v0
	s_delay_alu instid0(VALU_DEP_4) | instskip(SKIP_3) | instid1(VALU_DEP_4)
	v_and_or_b32 v2, 0xffe, v6, v2
	v_sub_nc_u32_e32 v6, 0x3f1, v7
	v_add_nc_u32_e32 v7, 0xfffffc10, v7
	v_med3_i32 v4, v4, 0, 13
	v_or_b32_e32 v11, 0x1000, v2
	s_delay_alu instid0(VALU_DEP_4) | instskip(NEXT) | instid1(VALU_DEP_3)
	v_med3_i32 v6, v6, 0, 13
	v_lshrrev_b32_e32 v12, v4, v10
	s_delay_alu instid0(VALU_DEP_2) | instskip(NEXT) | instid1(VALU_DEP_2)
	v_lshrrev_b32_e32 v13, v6, v11
	v_lshlrev_b32_e32 v4, v4, v12
	s_delay_alu instid0(VALU_DEP_2) | instskip(NEXT) | instid1(VALU_DEP_2)
	v_lshlrev_b32_e32 v6, v6, v13
	v_cmp_ne_u32_e32 vcc_lo, v4, v10
	v_lshl_or_b32 v10, v5, 12, v0
	s_wait_alu 0xfffd
	v_cndmask_b32_e64 v4, 0, 1, vcc_lo
	v_cmp_ne_u32_e32 vcc_lo, v6, v11
	v_lshl_or_b32 v11, v7, 12, v2
	s_delay_alu instid0(VALU_DEP_3) | instskip(SKIP_3) | instid1(VALU_DEP_2)
	v_or_b32_e32 v4, v12, v4
	s_wait_alu 0xfffd
	v_cndmask_b32_e64 v6, 0, 1, vcc_lo
	v_cmp_gt_i32_e32 vcc_lo, 1, v5
	v_or_b32_e32 v6, v13, v6
	s_wait_alu 0xfffd
	v_cndmask_b32_e32 v4, v10, v4, vcc_lo
	v_cmp_gt_i32_e32 vcc_lo, 1, v7
	s_delay_alu instid0(VALU_DEP_2) | instskip(SKIP_3) | instid1(VALU_DEP_3)
	v_and_b32_e32 v10, 7, v4
	s_wait_alu 0xfffd
	v_cndmask_b32_e32 v6, v11, v6, vcc_lo
	v_lshrrev_b32_e32 v4, 2, v4
	v_cmp_lt_i32_e32 vcc_lo, 5, v10
	v_cmp_eq_u32_e64 s0, 3, v10
	s_delay_alu instid0(VALU_DEP_4) | instskip(SKIP_1) | instid1(VALU_DEP_3)
	v_and_b32_e32 v11, 7, v6
	v_lshrrev_b32_e32 v6, 2, v6
	s_or_b32 vcc_lo, s0, vcc_lo
	s_delay_alu instid0(VALU_DEP_2)
	v_cmp_lt_i32_e64 s1, 5, v11
	s_wait_alu 0xfffe
	v_add_co_ci_u32_e32 v4, vcc_lo, 0, v4, vcc_lo
	v_cmp_eq_u32_e64 s2, 3, v11
	v_cmp_ne_u32_e32 vcc_lo, 0, v0
	s_wait_alu 0xfffd
	v_cndmask_b32_e64 v0, 0, 1, vcc_lo
	s_delay_alu instid0(VALU_DEP_3)
	s_or_b32 vcc_lo, s2, s1
	s_wait_alu 0xfffe
	v_add_co_ci_u32_e32 v6, vcc_lo, 0, v6, vcc_lo
	v_cmp_ne_u32_e32 vcc_lo, 0, v2
	v_lshl_or_b32 v0, v0, 9, 0x7c00
	s_wait_alu 0xfffd
	v_cndmask_b32_e64 v2, 0, 1, vcc_lo
	v_cmp_gt_i32_e32 vcc_lo, 31, v5
	s_delay_alu instid0(VALU_DEP_2)
	v_lshl_or_b32 v2, v2, 9, 0x7c00
	s_wait_alu 0xfffd
	v_cndmask_b32_e32 v4, 0x7c00, v4, vcc_lo
	v_cmp_gt_i32_e32 vcc_lo, 31, v7
	s_wait_alu 0xfffd
	v_cndmask_b32_e32 v6, 0x7c00, v6, vcc_lo
	v_cmp_eq_u32_e32 vcc_lo, 0x40f, v5
	s_wait_alu 0xfffd
	v_cndmask_b32_e32 v0, v4, v0, vcc_lo
	v_cmp_eq_u32_e32 vcc_lo, 0x40f, v7
	s_delay_alu instid0(VALU_DEP_2) | instskip(SKIP_2) | instid1(VALU_DEP_2)
	v_and_or_b32 v0, 0x8000, v1, v0
	s_wait_alu 0xfffd
	v_cndmask_b32_e32 v2, v6, v2, vcc_lo
	v_and_b32_e32 v0, 0xffff, v0
	s_delay_alu instid0(VALU_DEP_2) | instskip(NEXT) | instid1(VALU_DEP_1)
	v_and_or_b32 v1, 0x8000, v3, v2
	v_lshl_or_b32 v2, v1, 16, v0
	v_add_co_u32 v0, vcc_lo, v8, s22
	s_wait_alu 0xfffd
	v_add_co_ci_u32_e32 v1, vcc_lo, s23, v9, vcc_lo
	global_store_b32 v[0:1], v2, off
.LBB0_15:
	s_nop 0
	s_sendmsg sendmsg(MSG_DEALLOC_VGPRS)
	s_endpgm
	.section	.rodata,"a",@progbits
	.p2align	6, 0x0
	.amdhsa_kernel bluestein_single_fwd_len637_dim1_half_op_CI_CI
		.amdhsa_group_segment_fixed_size 2548
		.amdhsa_private_segment_fixed_size 0
		.amdhsa_kernarg_size 104
		.amdhsa_user_sgpr_count 2
		.amdhsa_user_sgpr_dispatch_ptr 0
		.amdhsa_user_sgpr_queue_ptr 0
		.amdhsa_user_sgpr_kernarg_segment_ptr 1
		.amdhsa_user_sgpr_dispatch_id 0
		.amdhsa_user_sgpr_private_segment_size 0
		.amdhsa_wavefront_size32 1
		.amdhsa_uses_dynamic_stack 0
		.amdhsa_enable_private_segment 0
		.amdhsa_system_sgpr_workgroup_id_x 1
		.amdhsa_system_sgpr_workgroup_id_y 0
		.amdhsa_system_sgpr_workgroup_id_z 0
		.amdhsa_system_sgpr_workgroup_info 0
		.amdhsa_system_vgpr_workitem_id 0
		.amdhsa_next_free_vgpr 153
		.amdhsa_next_free_sgpr 26
		.amdhsa_reserve_vcc 1
		.amdhsa_float_round_mode_32 0
		.amdhsa_float_round_mode_16_64 0
		.amdhsa_float_denorm_mode_32 3
		.amdhsa_float_denorm_mode_16_64 3
		.amdhsa_fp16_overflow 0
		.amdhsa_workgroup_processor_mode 1
		.amdhsa_memory_ordered 1
		.amdhsa_forward_progress 0
		.amdhsa_round_robin_scheduling 0
		.amdhsa_exception_fp_ieee_invalid_op 0
		.amdhsa_exception_fp_denorm_src 0
		.amdhsa_exception_fp_ieee_div_zero 0
		.amdhsa_exception_fp_ieee_overflow 0
		.amdhsa_exception_fp_ieee_underflow 0
		.amdhsa_exception_fp_ieee_inexact 0
		.amdhsa_exception_int_div_zero 0
	.end_amdhsa_kernel
	.text
.Lfunc_end0:
	.size	bluestein_single_fwd_len637_dim1_half_op_CI_CI, .Lfunc_end0-bluestein_single_fwd_len637_dim1_half_op_CI_CI
                                        ; -- End function
	.section	.AMDGPU.csdata,"",@progbits
; Kernel info:
; codeLenInByte = 21172
; NumSgprs: 28
; NumVgprs: 153
; ScratchSize: 0
; MemoryBound: 0
; FloatMode: 240
; IeeeMode: 1
; LDSByteSize: 2548 bytes/workgroup (compile time only)
; SGPRBlocks: 3
; VGPRBlocks: 19
; NumSGPRsForWavesPerEU: 28
; NumVGPRsForWavesPerEU: 153
; Occupancy: 9
; WaveLimiterHint : 1
; COMPUTE_PGM_RSRC2:SCRATCH_EN: 0
; COMPUTE_PGM_RSRC2:USER_SGPR: 2
; COMPUTE_PGM_RSRC2:TRAP_HANDLER: 0
; COMPUTE_PGM_RSRC2:TGID_X_EN: 1
; COMPUTE_PGM_RSRC2:TGID_Y_EN: 0
; COMPUTE_PGM_RSRC2:TGID_Z_EN: 0
; COMPUTE_PGM_RSRC2:TIDIG_COMP_CNT: 0
	.text
	.p2alignl 7, 3214868480
	.fill 96, 4, 3214868480
	.type	__hip_cuid_e367324e1e3820fe,@object ; @__hip_cuid_e367324e1e3820fe
	.section	.bss,"aw",@nobits
	.globl	__hip_cuid_e367324e1e3820fe
__hip_cuid_e367324e1e3820fe:
	.byte	0                               ; 0x0
	.size	__hip_cuid_e367324e1e3820fe, 1

	.ident	"AMD clang version 19.0.0git (https://github.com/RadeonOpenCompute/llvm-project roc-6.4.0 25133 c7fe45cf4b819c5991fe208aaa96edf142730f1d)"
	.section	".note.GNU-stack","",@progbits
	.addrsig
	.addrsig_sym __hip_cuid_e367324e1e3820fe
	.amdgpu_metadata
---
amdhsa.kernels:
  - .args:
      - .actual_access:  read_only
        .address_space:  global
        .offset:         0
        .size:           8
        .value_kind:     global_buffer
      - .actual_access:  read_only
        .address_space:  global
        .offset:         8
        .size:           8
        .value_kind:     global_buffer
      - .actual_access:  read_only
        .address_space:  global
        .offset:         16
        .size:           8
        .value_kind:     global_buffer
      - .actual_access:  read_only
        .address_space:  global
        .offset:         24
        .size:           8
        .value_kind:     global_buffer
      - .actual_access:  read_only
        .address_space:  global
        .offset:         32
        .size:           8
        .value_kind:     global_buffer
      - .offset:         40
        .size:           8
        .value_kind:     by_value
      - .address_space:  global
        .offset:         48
        .size:           8
        .value_kind:     global_buffer
      - .address_space:  global
        .offset:         56
        .size:           8
        .value_kind:     global_buffer
      - .address_space:  global
        .offset:         64
        .size:           8
        .value_kind:     global_buffer
      - .address_space:  global
        .offset:         72
        .size:           8
        .value_kind:     global_buffer
      - .offset:         80
        .size:           4
        .value_kind:     by_value
      - .address_space:  global
        .offset:         88
        .size:           8
        .value_kind:     global_buffer
      - .address_space:  global
        .offset:         96
        .size:           8
        .value_kind:     global_buffer
    .group_segment_fixed_size: 2548
    .kernarg_segment_align: 8
    .kernarg_segment_size: 104
    .language:       OpenCL C
    .language_version:
      - 2
      - 0
    .max_flat_workgroup_size: 91
    .name:           bluestein_single_fwd_len637_dim1_half_op_CI_CI
    .private_segment_fixed_size: 0
    .sgpr_count:     28
    .sgpr_spill_count: 0
    .symbol:         bluestein_single_fwd_len637_dim1_half_op_CI_CI.kd
    .uniform_work_group_size: 1
    .uses_dynamic_stack: false
    .vgpr_count:     153
    .vgpr_spill_count: 0
    .wavefront_size: 32
    .workgroup_processor_mode: 1
amdhsa.target:   amdgcn-amd-amdhsa--gfx1201
amdhsa.version:
  - 1
  - 2
...

	.end_amdgpu_metadata
